;; amdgpu-corpus repo=ROCm/rocFFT kind=compiled arch=gfx906 opt=O3
	.text
	.amdgcn_target "amdgcn-amd-amdhsa--gfx906"
	.amdhsa_code_object_version 6
	.protected	fft_rtc_fwd_len1950_factors_13_5_10_3_wgs_195_tpt_195_dp_ip_CI_unitstride_sbrr_R2C_dirReg ; -- Begin function fft_rtc_fwd_len1950_factors_13_5_10_3_wgs_195_tpt_195_dp_ip_CI_unitstride_sbrr_R2C_dirReg
	.globl	fft_rtc_fwd_len1950_factors_13_5_10_3_wgs_195_tpt_195_dp_ip_CI_unitstride_sbrr_R2C_dirReg
	.p2align	8
	.type	fft_rtc_fwd_len1950_factors_13_5_10_3_wgs_195_tpt_195_dp_ip_CI_unitstride_sbrr_R2C_dirReg,@function
fft_rtc_fwd_len1950_factors_13_5_10_3_wgs_195_tpt_195_dp_ip_CI_unitstride_sbrr_R2C_dirReg: ; @fft_rtc_fwd_len1950_factors_13_5_10_3_wgs_195_tpt_195_dp_ip_CI_unitstride_sbrr_R2C_dirReg
; %bb.0:
	s_load_dwordx2 s[12:13], s[4:5], 0x50
	s_load_dwordx4 s[8:11], s[4:5], 0x0
	s_load_dwordx2 s[2:3], s[4:5], 0x18
	v_mul_u32_u24_e32 v1, 0x151, v0
	v_add_u32_sdwa v5, s6, v1 dst_sel:DWORD dst_unused:UNUSED_PAD src0_sel:DWORD src1_sel:WORD_1
	v_mov_b32_e32 v3, 0
	s_waitcnt lgkmcnt(0)
	v_cmp_lt_u64_e64 s[0:1], s[10:11], 2
	v_mov_b32_e32 v1, 0
	v_mov_b32_e32 v6, v3
	s_and_b64 vcc, exec, s[0:1]
	v_mov_b32_e32 v2, 0
	s_cbranch_vccnz .LBB0_8
; %bb.1:
	s_load_dwordx2 s[0:1], s[4:5], 0x10
	s_add_u32 s6, s2, 8
	s_addc_u32 s7, s3, 0
	v_mov_b32_e32 v1, 0
	v_mov_b32_e32 v2, 0
	s_waitcnt lgkmcnt(0)
	s_add_u32 s14, s0, 8
	s_addc_u32 s15, s1, 0
	s_mov_b64 s[16:17], 1
.LBB0_2:                                ; =>This Inner Loop Header: Depth=1
	s_load_dwordx2 s[18:19], s[14:15], 0x0
                                        ; implicit-def: $vgpr7_vgpr8
	s_waitcnt lgkmcnt(0)
	v_or_b32_e32 v4, s19, v6
	v_cmp_ne_u64_e32 vcc, 0, v[3:4]
	s_and_saveexec_b64 s[0:1], vcc
	s_xor_b64 s[20:21], exec, s[0:1]
	s_cbranch_execz .LBB0_4
; %bb.3:                                ;   in Loop: Header=BB0_2 Depth=1
	v_cvt_f32_u32_e32 v4, s18
	v_cvt_f32_u32_e32 v7, s19
	s_sub_u32 s0, 0, s18
	s_subb_u32 s1, 0, s19
	v_mac_f32_e32 v4, 0x4f800000, v7
	v_rcp_f32_e32 v4, v4
	v_mul_f32_e32 v4, 0x5f7ffffc, v4
	v_mul_f32_e32 v7, 0x2f800000, v4
	v_trunc_f32_e32 v7, v7
	v_mac_f32_e32 v4, 0xcf800000, v7
	v_cvt_u32_f32_e32 v7, v7
	v_cvt_u32_f32_e32 v4, v4
	v_mul_lo_u32 v8, s0, v7
	v_mul_hi_u32 v9, s0, v4
	v_mul_lo_u32 v11, s1, v4
	v_mul_lo_u32 v10, s0, v4
	v_add_u32_e32 v8, v9, v8
	v_add_u32_e32 v8, v8, v11
	v_mul_hi_u32 v9, v4, v10
	v_mul_lo_u32 v11, v4, v8
	v_mul_hi_u32 v13, v4, v8
	v_mul_hi_u32 v12, v7, v10
	v_mul_lo_u32 v10, v7, v10
	v_mul_hi_u32 v14, v7, v8
	v_add_co_u32_e32 v9, vcc, v9, v11
	v_addc_co_u32_e32 v11, vcc, 0, v13, vcc
	v_mul_lo_u32 v8, v7, v8
	v_add_co_u32_e32 v9, vcc, v9, v10
	v_addc_co_u32_e32 v9, vcc, v11, v12, vcc
	v_addc_co_u32_e32 v10, vcc, 0, v14, vcc
	v_add_co_u32_e32 v8, vcc, v9, v8
	v_addc_co_u32_e32 v9, vcc, 0, v10, vcc
	v_add_co_u32_e32 v4, vcc, v4, v8
	v_addc_co_u32_e32 v7, vcc, v7, v9, vcc
	v_mul_lo_u32 v8, s0, v7
	v_mul_hi_u32 v9, s0, v4
	v_mul_lo_u32 v10, s1, v4
	v_mul_lo_u32 v11, s0, v4
	v_add_u32_e32 v8, v9, v8
	v_add_u32_e32 v8, v8, v10
	v_mul_lo_u32 v12, v4, v8
	v_mul_hi_u32 v13, v4, v11
	v_mul_hi_u32 v14, v4, v8
	;; [unrolled: 1-line block ×3, first 2 shown]
	v_mul_lo_u32 v11, v7, v11
	v_mul_hi_u32 v9, v7, v8
	v_add_co_u32_e32 v12, vcc, v13, v12
	v_addc_co_u32_e32 v13, vcc, 0, v14, vcc
	v_mul_lo_u32 v8, v7, v8
	v_add_co_u32_e32 v11, vcc, v12, v11
	v_addc_co_u32_e32 v10, vcc, v13, v10, vcc
	v_addc_co_u32_e32 v9, vcc, 0, v9, vcc
	v_add_co_u32_e32 v8, vcc, v10, v8
	v_addc_co_u32_e32 v9, vcc, 0, v9, vcc
	v_add_co_u32_e32 v4, vcc, v4, v8
	v_addc_co_u32_e32 v9, vcc, v7, v9, vcc
	v_mad_u64_u32 v[7:8], s[0:1], v5, v9, 0
	v_mul_hi_u32 v10, v5, v4
	v_add_co_u32_e32 v11, vcc, v10, v7
	v_addc_co_u32_e32 v12, vcc, 0, v8, vcc
	v_mad_u64_u32 v[7:8], s[0:1], v6, v4, 0
	v_mad_u64_u32 v[9:10], s[0:1], v6, v9, 0
	v_add_co_u32_e32 v4, vcc, v11, v7
	v_addc_co_u32_e32 v4, vcc, v12, v8, vcc
	v_addc_co_u32_e32 v7, vcc, 0, v10, vcc
	v_add_co_u32_e32 v4, vcc, v4, v9
	v_addc_co_u32_e32 v9, vcc, 0, v7, vcc
	v_mul_lo_u32 v10, s19, v4
	v_mul_lo_u32 v11, s18, v9
	v_mad_u64_u32 v[7:8], s[0:1], s18, v4, 0
	v_add3_u32 v8, v8, v11, v10
	v_sub_u32_e32 v10, v6, v8
	v_mov_b32_e32 v11, s19
	v_sub_co_u32_e32 v7, vcc, v5, v7
	v_subb_co_u32_e64 v10, s[0:1], v10, v11, vcc
	v_subrev_co_u32_e64 v11, s[0:1], s18, v7
	v_subbrev_co_u32_e64 v10, s[0:1], 0, v10, s[0:1]
	v_cmp_le_u32_e64 s[0:1], s19, v10
	v_cndmask_b32_e64 v12, 0, -1, s[0:1]
	v_cmp_le_u32_e64 s[0:1], s18, v11
	v_cndmask_b32_e64 v11, 0, -1, s[0:1]
	v_cmp_eq_u32_e64 s[0:1], s19, v10
	v_cndmask_b32_e64 v10, v12, v11, s[0:1]
	v_add_co_u32_e64 v11, s[0:1], 2, v4
	v_addc_co_u32_e64 v12, s[0:1], 0, v9, s[0:1]
	v_add_co_u32_e64 v13, s[0:1], 1, v4
	v_addc_co_u32_e64 v14, s[0:1], 0, v9, s[0:1]
	v_subb_co_u32_e32 v8, vcc, v6, v8, vcc
	v_cmp_ne_u32_e64 s[0:1], 0, v10
	v_cmp_le_u32_e32 vcc, s19, v8
	v_cndmask_b32_e64 v10, v14, v12, s[0:1]
	v_cndmask_b32_e64 v12, 0, -1, vcc
	v_cmp_le_u32_e32 vcc, s18, v7
	v_cndmask_b32_e64 v7, 0, -1, vcc
	v_cmp_eq_u32_e32 vcc, s19, v8
	v_cndmask_b32_e32 v7, v12, v7, vcc
	v_cmp_ne_u32_e32 vcc, 0, v7
	v_cndmask_b32_e64 v7, v13, v11, s[0:1]
	v_cndmask_b32_e32 v8, v9, v10, vcc
	v_cndmask_b32_e32 v7, v4, v7, vcc
.LBB0_4:                                ;   in Loop: Header=BB0_2 Depth=1
	s_andn2_saveexec_b64 s[0:1], s[20:21]
	s_cbranch_execz .LBB0_6
; %bb.5:                                ;   in Loop: Header=BB0_2 Depth=1
	v_cvt_f32_u32_e32 v4, s18
	s_sub_i32 s20, 0, s18
	v_rcp_iflag_f32_e32 v4, v4
	v_mul_f32_e32 v4, 0x4f7ffffe, v4
	v_cvt_u32_f32_e32 v4, v4
	v_mul_lo_u32 v7, s20, v4
	v_mul_hi_u32 v7, v4, v7
	v_add_u32_e32 v4, v4, v7
	v_mul_hi_u32 v4, v5, v4
	v_mul_lo_u32 v7, v4, s18
	v_add_u32_e32 v8, 1, v4
	v_sub_u32_e32 v7, v5, v7
	v_subrev_u32_e32 v9, s18, v7
	v_cmp_le_u32_e32 vcc, s18, v7
	v_cndmask_b32_e32 v7, v7, v9, vcc
	v_cndmask_b32_e32 v4, v4, v8, vcc
	v_add_u32_e32 v8, 1, v4
	v_cmp_le_u32_e32 vcc, s18, v7
	v_cndmask_b32_e32 v7, v4, v8, vcc
	v_mov_b32_e32 v8, v3
.LBB0_6:                                ;   in Loop: Header=BB0_2 Depth=1
	s_or_b64 exec, exec, s[0:1]
	v_mul_lo_u32 v4, v8, s18
	v_mul_lo_u32 v11, v7, s19
	v_mad_u64_u32 v[9:10], s[0:1], v7, s18, 0
	s_load_dwordx2 s[0:1], s[6:7], 0x0
	s_add_u32 s16, s16, 1
	v_add3_u32 v4, v10, v11, v4
	v_sub_co_u32_e32 v5, vcc, v5, v9
	v_subb_co_u32_e32 v4, vcc, v6, v4, vcc
	s_waitcnt lgkmcnt(0)
	v_mul_lo_u32 v4, s0, v4
	v_mul_lo_u32 v6, s1, v5
	v_mad_u64_u32 v[1:2], s[0:1], s0, v5, v[1:2]
	s_addc_u32 s17, s17, 0
	s_add_u32 s6, s6, 8
	v_add3_u32 v2, v6, v2, v4
	v_mov_b32_e32 v4, s10
	v_mov_b32_e32 v5, s11
	s_addc_u32 s7, s7, 0
	v_cmp_ge_u64_e32 vcc, s[16:17], v[4:5]
	s_add_u32 s14, s14, 8
	s_addc_u32 s15, s15, 0
	s_cbranch_vccnz .LBB0_9
; %bb.7:                                ;   in Loop: Header=BB0_2 Depth=1
	v_mov_b32_e32 v5, v7
	v_mov_b32_e32 v6, v8
	s_branch .LBB0_2
.LBB0_8:
	v_mov_b32_e32 v8, v6
	v_mov_b32_e32 v7, v5
.LBB0_9:
	s_lshl_b64 s[0:1], s[10:11], 3
	s_add_u32 s0, s2, s0
	s_addc_u32 s1, s3, s1
	s_load_dwordx2 s[2:3], s[0:1], 0x0
	s_load_dwordx2 s[6:7], s[4:5], 0x20
	s_waitcnt lgkmcnt(0)
	v_mad_u64_u32 v[1:2], s[0:1], s2, v7, v[1:2]
	s_mov_b32 s0, 0x1501502
	v_mul_lo_u32 v3, s2, v8
	v_mul_lo_u32 v4, s3, v7
	v_mul_hi_u32 v5, v0, s0
	v_cmp_gt_u64_e64 s[0:1], s[6:7], v[7:8]
	v_add3_u32 v2, v4, v2, v3
	v_mul_u32_u24_e32 v3, 0xc3, v5
	v_sub_u32_e32 v64, v0, v3
	v_lshlrev_b64 v[66:67], 4, v[1:2]
	v_lshl_add_u32 v170, v64, 4, 0
	s_and_saveexec_b64 s[2:3], s[0:1]
	s_cbranch_execz .LBB0_11
; %bb.10:
	v_mov_b32_e32 v65, 0
	v_mov_b32_e32 v0, s13
	v_add_co_u32_e32 v2, vcc, s12, v66
	v_addc_co_u32_e32 v3, vcc, v0, v67, vcc
	v_lshlrev_b64 v[0:1], 4, v[64:65]
	v_add_co_u32_e32 v24, vcc, v2, v0
	v_addc_co_u32_e32 v25, vcc, v3, v1, vcc
	v_add_co_u32_e32 v16, vcc, 0x1000, v24
	v_addc_co_u32_e32 v17, vcc, 0, v25, vcc
	;; [unrolled: 2-line block ×6, first 2 shown]
	v_add_co_u32_e32 v44, vcc, 0x6000, v24
	global_load_dwordx4 v[0:3], v[24:25], off
	global_load_dwordx4 v[4:7], v[24:25], off offset:3120
	global_load_dwordx4 v[8:11], v[16:17], off offset:2144
	;; [unrolled: 1-line block ×3, first 2 shown]
	s_nop 0
	global_load_dwordx4 v[16:19], v[26:27], off offset:192
	global_load_dwordx4 v[20:23], v[26:27], off offset:3312
	v_addc_co_u32_e32 v45, vcc, 0, v25, vcc
	global_load_dwordx4 v[24:27], v[40:41], off offset:2336
	global_load_dwordx4 v[28:31], v[42:43], off offset:1360
	;; [unrolled: 1-line block ×4, first 2 shown]
	s_waitcnt vmcnt(9)
	ds_write_b128 v170, v[0:3]
	s_waitcnt vmcnt(8)
	ds_write_b128 v170, v[4:7] offset:3120
	s_waitcnt vmcnt(7)
	ds_write_b128 v170, v[8:11] offset:6240
	;; [unrolled: 2-line block ×9, first 2 shown]
.LBB0_11:
	s_or_b64 exec, exec, s[2:3]
	s_waitcnt lgkmcnt(0)
	s_barrier
	ds_read_b128 v[8:11], v170 offset:28800
	ds_read_b128 v[12:15], v170 offset:2400
	ds_read_b128 v[20:23], v170
	ds_read_b128 v[16:19], v170 offset:26400
	ds_read_b128 v[32:35], v170 offset:4800
	;; [unrolled: 1-line block ×3, first 2 shown]
	s_mov_b32 s2, 0x42a4c3d2
	s_mov_b32 s3, 0xbfea55e2
	s_waitcnt lgkmcnt(4)
	v_add_f64 v[70:71], v[14:15], -v[10:11]
	v_add_f64 v[68:69], v[12:13], v[8:9]
	s_waitcnt lgkmcnt(1)
	v_add_f64 v[74:75], v[34:35], -v[18:19]
	v_add_f64 v[76:77], v[12:13], -v[8:9]
	s_mov_b32 s10, 0x1ea71119
	s_mov_b32 s4, 0x2ef20147
	;; [unrolled: 1-line block ×4, first 2 shown]
	v_mul_f64 v[98:99], v[70:71], s[2:3]
	s_mov_b32 s5, 0xbfedeba7
	s_mov_b32 s21, 0xbfefc445
	v_add_f64 v[72:73], v[32:33], v[16:17]
	v_add_f64 v[100:101], v[14:15], v[10:11]
	v_mul_f64 v[96:97], v[74:75], s[4:5]
	v_mul_f64 v[114:115], v[76:77], s[2:3]
	v_add_f64 v[78:79], v[32:33], -v[16:17]
	v_fma_f64 v[0:1], v[68:69], s[10:11], v[98:99]
	v_mul_f64 v[146:147], v[70:71], s[20:21]
	v_mul_f64 v[160:161], v[76:77], s[20:21]
	ds_read_b128 v[24:27], v170 offset:24000
	s_mov_b32 s6, 0xb2365da1
	s_mov_b32 s14, 0x4bc48dbf
	;; [unrolled: 1-line block ×6, first 2 shown]
	v_add_f64 v[0:1], v[20:21], v[0:1]
	s_waitcnt lgkmcnt(0)
	v_add_f64 v[82:83], v[30:31], -v[26:27]
	v_fma_f64 v[2:3], v[72:73], s[6:7], v[96:97]
	v_fma_f64 v[4:5], v[100:101], s[10:11], -v[114:115]
	v_add_f64 v[104:105], v[34:35], v[18:19]
	v_mul_f64 v[116:117], v[78:79], s[4:5]
	v_add_f64 v[84:85], v[28:29], -v[24:25]
	v_fma_f64 v[52:53], v[68:69], s[28:29], v[146:147]
	v_mul_f64 v[148:149], v[74:75], s[14:15]
	v_fma_f64 v[54:55], v[100:101], s[28:29], -v[160:161]
	v_mul_f64 v[164:165], v[78:79], s[14:15]
	ds_read_b128 v[36:39], v170 offset:21600
	ds_read_b128 v[40:43], v170 offset:9600
	s_mov_b32 s16, 0x93053d00
	s_mov_b32 s17, 0xbfef11f4
	;; [unrolled: 1-line block ×4, first 2 shown]
	v_add_f64 v[80:81], v[28:29], v[24:25]
	v_mul_f64 v[86:87], v[82:83], s[14:15]
	v_add_f64 v[0:1], v[2:3], v[0:1]
	v_add_f64 v[2:3], v[22:23], v[4:5]
	v_fma_f64 v[4:5], v[104:105], s[6:7], -v[116:117]
	v_add_f64 v[88:89], v[30:31], v[26:27]
	v_mul_f64 v[118:119], v[84:85], s[14:15]
	s_waitcnt lgkmcnt(0)
	v_add_f64 v[102:103], v[42:43], -v[38:39]
	v_add_f64 v[92:93], v[40:41], -v[36:37]
	v_add_f64 v[60:61], v[20:21], v[52:53]
	v_fma_f64 v[62:63], v[72:73], s[16:17], v[148:149]
	v_add_f64 v[120:121], v[22:23], v[54:55]
	v_fma_f64 v[122:123], v[104:105], s[16:17], -v[164:165]
	v_mul_f64 v[152:153], v[82:83], s[36:37]
	v_mul_f64 v[158:159], v[84:85], s[36:37]
	ds_read_b128 v[44:47], v170 offset:12000
	ds_read_b128 v[48:51], v170 offset:19200
	s_mov_b32 s22, 0x24c2f84
	s_mov_b32 s40, 0x4267c47c
	;; [unrolled: 1-line block ×4, first 2 shown]
	v_fma_f64 v[6:7], v[80:81], s[16:17], v[86:87]
	v_add_f64 v[2:3], v[4:5], v[2:3]
	v_fma_f64 v[4:5], v[88:89], s[16:17], -v[118:119]
	v_add_f64 v[90:91], v[40:41], v[36:37]
	v_mul_f64 v[112:113], v[102:103], s[22:23]
	v_add_f64 v[110:111], v[42:43], v[38:39]
	v_mul_f64 v[130:131], v[92:93], s[22:23]
	s_waitcnt lgkmcnt(0)
	v_add_f64 v[106:107], v[46:47], -v[50:51]
	v_add_f64 v[94:95], v[44:45], -v[48:49]
	v_add_f64 v[60:61], v[62:63], v[60:61]
	v_add_f64 v[62:63], v[122:123], v[120:121]
	v_fma_f64 v[122:123], v[80:81], s[6:7], v[152:153]
	v_fma_f64 v[132:133], v[88:89], s[6:7], -v[158:159]
	v_mul_f64 v[154:155], v[102:103], s[40:41]
	v_mul_f64 v[162:163], v[92:93], s[40:41]
	ds_read_b128 v[56:59], v170 offset:14400
	ds_read_b128 v[52:55], v170 offset:16800
	s_mov_b32 s18, 0xd0032e0c
	s_mov_b32 s34, 0xe00740e9
	;; [unrolled: 1-line block ×6, first 2 shown]
	v_add_f64 v[0:1], v[6:7], v[0:1]
	v_add_f64 v[2:3], v[4:5], v[2:3]
	v_fma_f64 v[4:5], v[90:91], s[18:19], v[112:113]
	v_fma_f64 v[6:7], v[110:111], s[18:19], -v[130:131]
	v_add_f64 v[108:109], v[44:45], v[48:49]
	v_mul_f64 v[126:127], v[106:107], s[26:27]
	v_add_f64 v[124:125], v[46:47], v[50:51]
	v_mul_f64 v[136:137], v[94:95], s[26:27]
	s_waitcnt lgkmcnt(0)
	v_add_f64 v[128:129], v[58:59], -v[54:55]
	v_add_f64 v[120:121], v[56:57], -v[52:53]
	v_add_f64 v[60:61], v[122:123], v[60:61]
	v_add_f64 v[62:63], v[132:133], v[62:63]
	v_fma_f64 v[138:139], v[90:91], s[34:35], v[154:155]
	v_fma_f64 v[140:141], v[110:111], s[34:35], -v[162:163]
	v_mul_f64 v[150:151], v[106:107], s[2:3]
	v_mul_f64 v[166:167], v[94:95], s[2:3]
	s_mov_b32 s31, 0xbfe5384d
	s_mov_b32 s30, s22
	v_add_f64 v[0:1], v[4:5], v[0:1]
	v_add_f64 v[2:3], v[6:7], v[2:3]
	v_fma_f64 v[4:5], v[108:109], s[28:29], v[126:127]
	v_fma_f64 v[6:7], v[124:125], s[28:29], -v[136:137]
	v_add_f64 v[122:123], v[56:57], v[52:53]
	v_mul_f64 v[134:135], v[128:129], s[40:41]
	v_add_f64 v[132:133], v[58:59], v[54:55]
	v_mul_f64 v[144:145], v[120:121], s[40:41]
	v_add_f64 v[60:61], v[138:139], v[60:61]
	v_add_f64 v[62:63], v[140:141], v[62:63]
	v_fma_f64 v[138:139], v[108:109], s[10:11], v[150:151]
	v_fma_f64 v[140:141], v[124:125], s[10:11], -v[166:167]
	v_mul_f64 v[156:157], v[128:129], s[30:31]
	v_mul_f64 v[168:169], v[120:121], s[30:31]
	v_add_f64 v[0:1], v[4:5], v[0:1]
	v_add_f64 v[2:3], v[6:7], v[2:3]
	v_fma_f64 v[4:5], v[122:123], s[34:35], v[134:135]
	v_fma_f64 v[6:7], v[132:133], s[34:35], -v[144:145]
	v_add_f64 v[60:61], v[138:139], v[60:61]
	v_add_f64 v[62:63], v[140:141], v[62:63]
	v_fma_f64 v[138:139], v[122:123], s[18:19], v[156:157]
	v_fma_f64 v[140:141], v[132:133], s[18:19], -v[168:169]
	s_movk_i32 s24, 0x96
	v_cmp_gt_u32_e32 vcc, s24, v64
	v_add_f64 v[4:5], v[4:5], v[0:1]
	v_add_f64 v[6:7], v[6:7], v[2:3]
	s_barrier
	v_add_f64 v[0:1], v[138:139], v[60:61]
	v_add_f64 v[2:3], v[140:141], v[62:63]
	s_and_saveexec_b64 s[24:25], vcc
	s_cbranch_execz .LBB0_13
; %bb.12:
	v_mul_f64 v[60:61], v[100:101], s[16:17]
	s_mov_b32 s39, 0x3fcea1e5
	s_mov_b32 s38, s14
	v_mul_f64 v[62:63], v[104:105], s[34:35]
	v_mul_f64 v[171:172], v[70:71], s[14:15]
	s_mov_b32 s43, 0xbfddbe06
	s_mov_b32 s42, s40
	v_mul_f64 v[175:176], v[88:89], s[18:19]
	v_fma_f64 v[173:174], v[76:77], s[38:39], v[60:61]
	v_mul_f64 v[177:178], v[74:75], s[40:41]
	v_mul_f64 v[215:216], v[110:111], s[10:11]
	v_fma_f64 v[181:182], v[78:79], s[42:43], v[62:63]
	v_fma_f64 v[179:180], v[68:69], s[16:17], v[171:172]
	v_mul_f64 v[217:218], v[82:83], s[30:31]
	s_mov_b32 s45, 0x3fea55e2
	v_fma_f64 v[221:222], v[84:85], s[22:23], v[175:176]
	v_add_f64 v[173:174], v[22:23], v[173:174]
	v_fma_f64 v[219:220], v[72:73], s[34:35], v[177:178]
	s_mov_b32 s44, s2
	v_fma_f64 v[60:61], v[76:77], s[14:15], v[60:61]
	v_add_f64 v[179:180], v[20:21], v[179:180]
	v_fma_f64 v[223:224], v[80:81], s[18:19], v[217:218]
	v_fma_f64 v[225:226], v[92:93], s[2:3], v[215:216]
	v_fma_f64 v[62:63], v[78:79], s[40:41], v[62:63]
	v_add_f64 v[173:174], v[181:182], v[173:174]
	v_mul_f64 v[181:182], v[102:103], s[44:45]
	v_fma_f64 v[175:176], v[84:85], s[30:31], v[175:176]
	v_add_f64 v[60:61], v[22:23], v[60:61]
	v_add_f64 v[179:180], v[219:220], v[179:180]
	v_mul_f64 v[219:220], v[124:125], s[6:7]
	v_fma_f64 v[215:216], v[92:93], s[44:45], v[215:216]
	v_fma_f64 v[171:172], v[68:69], s[16:17], -v[171:172]
	v_add_f64 v[173:174], v[221:222], v[173:174]
	v_mul_f64 v[221:222], v[106:107], s[4:5]
	v_fma_f64 v[227:228], v[90:91], s[10:11], v[181:182]
	v_add_f64 v[60:61], v[62:63], v[60:61]
	v_add_f64 v[179:180], v[223:224], v[179:180]
	v_mul_f64 v[223:224], v[132:133], s[28:29]
	v_fma_f64 v[229:230], v[94:95], s[36:37], v[219:220]
	v_fma_f64 v[177:178], v[72:73], s[34:35], -v[177:178]
	v_add_f64 v[173:174], v[225:226], v[173:174]
	v_mul_f64 v[225:226], v[128:129], s[26:27]
	v_fma_f64 v[231:232], v[108:109], s[6:7], v[221:222]
	v_add_f64 v[60:61], v[175:176], v[60:61]
	v_add_f64 v[62:63], v[227:228], v[179:180]
	v_fma_f64 v[179:180], v[120:121], s[20:21], v[223:224]
	v_add_f64 v[171:172], v[20:21], v[171:172]
	v_mul_f64 v[237:238], v[74:75], s[26:27]
	v_add_f64 v[173:174], v[229:230], v[173:174]
	v_fma_f64 v[233:234], v[122:123], s[28:29], v[225:226]
	v_fma_f64 v[217:218], v[80:81], s[18:19], -v[217:218]
	v_add_f64 v[215:216], v[215:216], v[60:61]
	v_add_f64 v[175:176], v[231:232], v[62:63]
	v_mul_f64 v[245:246], v[82:83], s[2:3]
	v_add_f64 v[171:172], v[177:178], v[171:172]
	v_fma_f64 v[177:178], v[72:73], s[28:29], v[237:238]
	v_add_f64 v[62:63], v[179:180], v[173:174]
	v_mul_f64 v[173:174], v[100:101], s[18:19]
	v_fma_f64 v[179:180], v[94:95], s[4:5], v[219:220]
	v_mul_f64 v[219:220], v[70:71], s[30:31]
	v_add_f64 v[60:61], v[233:234], v[175:176]
	v_fma_f64 v[175:176], v[120:121], s[26:27], v[223:224]
	v_mul_f64 v[223:224], v[104:105], s[28:29]
	v_mul_f64 v[243:244], v[110:111], s[16:17]
	v_fma_f64 v[181:182], v[90:91], s[10:11], -v[181:182]
	v_fma_f64 v[233:234], v[76:77], s[22:23], v[173:174]
	v_add_f64 v[179:180], v[179:180], v[215:216]
	v_fma_f64 v[239:240], v[68:69], s[18:19], v[219:220]
	v_mul_f64 v[215:216], v[88:89], s[10:11]
	v_add_f64 v[171:172], v[217:218], v[171:172]
	v_fma_f64 v[241:242], v[78:79], s[20:21], v[223:224]
	v_fma_f64 v[249:250], v[80:81], s[10:11], v[245:246]
	v_mul_f64 v[217:218], v[124:125], s[34:35]
	v_add_f64 v[233:234], v[22:23], v[233:234]
	v_fma_f64 v[221:222], v[108:109], s[6:7], -v[221:222]
	v_add_f64 v[239:240], v[20:21], v[239:240]
	v_fma_f64 v[247:248], v[84:85], s[44:45], v[215:216]
	v_add_f64 v[171:172], v[181:182], v[171:172]
	v_mul_f64 v[181:182], v[132:133], s[6:7]
	v_fma_f64 v[225:226], v[122:123], s[28:29], -v[225:226]
	v_fma_f64 v[219:220], v[68:69], s[18:19], -v[219:220]
	v_add_f64 v[233:234], v[241:242], v[233:234]
	v_mul_f64 v[241:242], v[102:103], s[38:39]
	v_add_f64 v[177:178], v[177:178], v[239:240]
	v_fma_f64 v[239:240], v[92:93], s[14:15], v[243:244]
	v_add_f64 v[171:172], v[221:222], v[171:172]
	v_fma_f64 v[221:222], v[76:77], s[30:31], v[173:174]
	;; [unrolled: 2-line block ×3, first 2 shown]
	v_add_f64 v[233:234], v[247:248], v[233:234]
	v_mul_f64 v[247:248], v[106:107], s[40:41]
	v_fma_f64 v[251:252], v[90:91], s[16:17], v[241:242]
	v_add_f64 v[177:178], v[249:250], v[177:178]
	v_fma_f64 v[249:250], v[94:95], s[42:43], v[217:218]
	v_add_f64 v[179:180], v[22:23], v[221:222]
	v_add_f64 v[171:172], v[225:226], v[171:172]
	v_mul_f64 v[225:226], v[100:101], s[6:7]
	v_add_f64 v[233:234], v[239:240], v[233:234]
	v_mul_f64 v[239:240], v[128:129], s[4:5]
	v_fma_f64 v[253:254], v[108:109], s[34:35], v[247:248]
	v_add_f64 v[177:178], v[251:252], v[177:178]
	v_fma_f64 v[251:252], v[120:121], s[36:37], v[181:182]
	v_mul_f64 v[189:190], v[100:101], s[28:29]
	v_fma_f64 v[215:216], v[84:85], s[2:3], v[215:216]
	v_add_f64 v[179:180], v[175:176], v[179:180]
	v_add_f64 v[233:234], v[249:250], v[233:234]
	v_fma_f64 v[221:222], v[122:123], s[6:7], v[239:240]
	v_add_f64 v[219:220], v[20:21], v[219:220]
	v_add_f64 v[223:224], v[253:254], v[177:178]
	v_mul_f64 v[197:198], v[104:105], s[16:17]
	v_add_f64 v[160:161], v[160:161], v[189:190]
	v_mul_f64 v[203:204], v[88:89], s[6:7]
	v_add_f64 v[179:180], v[215:216], v[179:180]
	v_add_f64 v[177:178], v[251:252], v[233:234]
	v_fma_f64 v[233:234], v[72:73], s[28:29], -v[237:238]
	v_fma_f64 v[237:238], v[76:77], s[36:37], v[225:226]
	v_add_f64 v[175:176], v[221:222], v[223:224]
	v_mul_f64 v[223:224], v[104:105], s[18:19]
	v_fma_f64 v[221:222], v[92:93], s[38:39], v[243:244]
	v_fma_f64 v[215:216], v[80:81], s[10:11], -v[245:246]
	v_mul_f64 v[243:244], v[70:71], s[4:5]
	v_fma_f64 v[217:218], v[94:95], s[40:41], v[217:218]
	v_add_f64 v[219:220], v[233:234], v[219:220]
	v_mul_f64 v[233:234], v[88:89], s[34:35]
	v_add_f64 v[237:238], v[22:23], v[237:238]
	v_fma_f64 v[245:246], v[78:79], s[30:31], v[223:224]
	v_add_f64 v[179:180], v[221:222], v[179:180]
	v_add_f64 v[164:165], v[164:165], v[197:198]
	v_fma_f64 v[249:250], v[68:69], s[6:7], v[243:244]
	v_add_f64 v[160:161], v[22:23], v[160:161]
	v_add_f64 v[215:216], v[215:216], v[219:220]
	v_mul_f64 v[219:220], v[110:111], s[28:29]
	v_fma_f64 v[251:252], v[84:85], s[42:43], v[233:234]
	v_add_f64 v[237:238], v[245:246], v[237:238]
	v_mul_f64 v[209:210], v[110:111], s[34:35]
	v_add_f64 v[179:180], v[217:218], v[179:180]
	v_fma_f64 v[217:218], v[108:109], s[34:35], -v[247:248]
	v_add_f64 v[247:248], v[20:21], v[249:250]
	v_add_f64 v[158:159], v[158:159], v[203:204]
	v_fma_f64 v[249:250], v[92:93], s[26:27], v[219:220]
	v_add_f64 v[160:161], v[164:165], v[160:161]
	v_add_f64 v[237:238], v[251:252], v[237:238]
	v_mul_f64 v[251:252], v[124:125], s[16:17]
	v_mul_f64 v[227:228], v[124:125], s[10:11]
	v_add_f64 v[162:163], v[162:163], v[209:210]
	v_add_f64 v[14:15], v[22:23], v[14:15]
	;; [unrolled: 1-line block ×3, first 2 shown]
	v_mul_f64 v[185:186], v[100:101], s[10:11]
	v_add_f64 v[158:159], v[158:159], v[160:161]
	v_add_f64 v[237:238], v[249:250], v[237:238]
	v_fma_f64 v[249:250], v[94:95], s[14:15], v[251:252]
	v_add_f64 v[166:167], v[166:167], v[227:228]
	v_mul_f64 v[183:184], v[68:69], s[10:11]
	v_add_f64 v[14:15], v[14:15], v[34:35]
	v_add_f64 v[12:13], v[12:13], v[32:33]
	v_mul_f64 v[193:194], v[104:105], s[6:7]
	v_add_f64 v[158:159], v[162:163], v[158:159]
	v_mul_f64 v[191:192], v[72:73], s[6:7]
	;; [unrolled: 2-line block ×3, first 2 shown]
	v_mul_f64 v[199:200], v[88:89], s[16:17]
	v_add_f64 v[14:15], v[14:15], v[30:31]
	v_add_f64 v[12:13], v[12:13], v[28:29]
	;; [unrolled: 1-line block ×5, first 2 shown]
	v_add_f64 v[98:99], v[183:184], -v[98:99]
	v_add_f64 v[168:169], v[168:169], v[249:250]
	v_mul_f64 v[100:101], v[100:101], s[34:35]
	v_add_f64 v[14:15], v[14:15], v[42:43]
	v_add_f64 v[40:41], v[12:13], v[40:41]
	v_mul_f64 v[140:141], v[80:81], s[16:17]
	v_mul_f64 v[205:206], v[110:111], s[18:19]
	v_add_f64 v[118:119], v[118:119], v[199:200]
	v_add_f64 v[96:97], v[191:192], -v[96:97]
	v_add_f64 v[114:115], v[168:169], v[158:159]
	v_add_f64 v[158:159], v[22:23], v[166:167]
	;; [unrolled: 1-line block ×3, first 2 shown]
	v_mul_f64 v[104:105], v[104:105], s[10:11]
	v_add_f64 v[14:15], v[14:15], v[46:47]
	v_add_f64 v[40:41], v[40:41], v[44:45]
	v_mul_f64 v[138:139], v[90:91], s[18:19]
	v_mul_f64 v[211:212], v[124:125], s[28:29]
	v_add_f64 v[130:131], v[130:131], v[205:206]
	v_add_f64 v[116:117], v[116:117], v[158:159]
	v_fma_f64 v[158:159], v[76:77], s[40:41], v[100:101]
	v_add_f64 v[86:87], v[140:141], -v[86:87]
	v_add_f64 v[96:97], v[96:97], v[98:99]
	v_mul_f64 v[88:89], v[88:89], s[28:29]
	v_fma_f64 v[98:99], v[78:79], s[44:45], v[104:105]
	v_mul_f64 v[44:45], v[70:71], s[42:43]
	v_mul_f64 v[187:188], v[68:69], s[28:29]
	v_add_f64 v[116:117], v[118:119], v[116:117]
	v_add_f64 v[118:119], v[22:23], v[158:159]
	;; [unrolled: 1-line block ×4, first 2 shown]
	v_fma_f64 v[221:222], v[90:91], s[16:17], -v[241:242]
	v_mul_f64 v[241:242], v[74:75], s[22:23]
	v_fma_f64 v[225:226], v[76:77], s[4:5], v[225:226]
	v_add_f64 v[136:137], v[136:137], v[211:212]
	v_add_f64 v[32:33], v[130:131], v[116:117]
	v_add_f64 v[34:35], v[138:139], -v[112:113]
	v_add_f64 v[86:87], v[86:87], v[96:97]
	v_mul_f64 v[96:97], v[110:111], s[6:7]
	v_fma_f64 v[110:111], v[84:85], s[26:27], v[88:89]
	v_add_f64 v[98:99], v[98:99], v[118:119]
	v_fma_f64 v[76:77], v[76:77], s[42:43], v[100:101]
	v_mul_f64 v[74:75], v[74:75], s[2:3]
	v_fma_f64 v[56:57], v[68:69], s[34:35], -v[44:45]
	v_mul_f64 v[195:196], v[72:73], s[16:17]
	v_add_f64 v[146:147], v[187:188], -v[146:147]
	v_fma_f64 v[243:244], v[68:69], s[6:7], -v[243:244]
	v_fma_f64 v[44:45], v[68:69], s[34:35], v[44:45]
	v_add_f64 v[14:15], v[14:15], v[54:55]
	v_add_f64 v[40:41], v[40:41], v[52:53]
	;; [unrolled: 1-line block ×5, first 2 shown]
	v_fma_f64 v[86:87], v[92:93], s[36:37], v[96:97]
	v_add_f64 v[98:99], v[110:111], v[98:99]
	v_mul_f64 v[58:59], v[82:83], s[20:21]
	v_fma_f64 v[68:69], v[78:79], s[2:3], v[104:105]
	v_add_f64 v[22:23], v[22:23], v[76:77]
	v_fma_f64 v[76:77], v[72:73], s[10:11], -v[74:75]
	v_add_f64 v[52:53], v[20:21], v[56:57]
	v_mul_f64 v[201:202], v[80:81], s[6:7]
	v_add_f64 v[148:149], v[195:196], -v[148:149]
	v_add_f64 v[146:147], v[20:21], v[146:147]
	v_add_f64 v[215:216], v[221:222], v[215:216]
	v_mul_f64 v[221:222], v[82:83], s[40:41]
	v_fma_f64 v[245:246], v[72:73], s[18:19], v[241:242]
	v_fma_f64 v[223:224], v[78:79], s[22:23], v[223:224]
	v_fma_f64 v[241:242], v[72:73], s[18:19], -v[241:242]
	v_add_f64 v[243:244], v[20:21], v[243:244]
	v_fma_f64 v[54:55], v[72:73], s[10:11], v[74:75]
	v_add_f64 v[20:21], v[20:21], v[44:45]
	v_add_f64 v[14:15], v[14:15], v[50:51]
	;; [unrolled: 1-line block ×3, first 2 shown]
	v_mul_f64 v[142:143], v[108:109], s[28:29]
	v_add_f64 v[86:87], v[86:87], v[98:99]
	v_mul_f64 v[98:99], v[102:103], s[4:5]
	v_fma_f64 v[44:45], v[84:85], s[20:21], v[88:89]
	v_add_f64 v[22:23], v[68:69], v[22:23]
	v_fma_f64 v[56:57], v[80:81], s[28:29], -v[58:59]
	v_add_f64 v[48:49], v[76:77], v[52:53]
	v_mul_f64 v[207:208], v[90:91], s[34:35]
	v_add_f64 v[152:153], v[201:202], -v[152:153]
	v_add_f64 v[146:147], v[148:149], v[146:147]
	v_fma_f64 v[181:182], v[120:121], s[4:5], v[181:182]
	v_fma_f64 v[239:240], v[122:123], s[6:7], -v[239:240]
	v_add_f64 v[215:216], v[217:218], v[215:216]
	v_fma_f64 v[217:218], v[80:81], s[34:35], v[221:222]
	v_add_f64 v[245:246], v[245:246], v[247:248]
	v_mul_f64 v[247:248], v[102:103], s[20:21]
	v_add_f64 v[223:224], v[223:224], v[225:226]
	v_fma_f64 v[233:234], v[84:85], s[40:41], v[233:234]
	v_fma_f64 v[221:222], v[80:81], s[34:35], -v[221:222]
	v_add_f64 v[187:188], v[241:242], v[243:244]
	v_fma_f64 v[50:51], v[80:81], s[28:29], v[58:59]
	v_add_f64 v[20:21], v[54:55], v[20:21]
	v_add_f64 v[14:15], v[14:15], v[38:39]
	;; [unrolled: 1-line block ×3, first 2 shown]
	v_add_f64 v[30:31], v[142:143], -v[126:127]
	v_mul_f64 v[34:35], v[124:125], s[18:19]
	v_mul_f64 v[70:71], v[106:107], s[30:31]
	v_fma_f64 v[52:53], v[92:93], s[4:5], v[96:97]
	v_add_f64 v[22:23], v[44:45], v[22:23]
	v_fma_f64 v[44:45], v[90:91], s[6:7], -v[98:99]
	v_add_f64 v[38:39], v[56:57], v[48:49]
	v_mul_f64 v[231:232], v[132:133], s[34:35]
	v_mul_f64 v[213:214], v[108:109], s[10:11]
	v_add_f64 v[154:155], v[207:208], -v[154:155]
	v_add_f64 v[152:153], v[152:153], v[146:147]
	v_add_f64 v[181:182], v[181:182], v[179:180]
	v_add_f64 v[179:180], v[239:240], v[215:216]
	v_mul_f64 v[239:240], v[106:107], s[38:39]
	v_fma_f64 v[164:165], v[92:93], s[20:21], v[219:220]
	v_add_f64 v[203:204], v[233:234], v[223:224]
	v_fma_f64 v[219:220], v[90:91], s[28:29], -v[247:248]
	v_add_f64 v[187:188], v[221:222], v[187:188]
	v_add_f64 v[217:218], v[217:218], v[245:246]
	v_fma_f64 v[245:246], v[90:91], s[28:29], v[247:248]
	v_fma_f64 v[40:41], v[90:91], s[6:7], v[98:99]
	v_add_f64 v[20:21], v[50:51], v[20:21]
	v_add_f64 v[14:15], v[14:15], v[26:27]
	;; [unrolled: 1-line block ×4, first 2 shown]
	v_mul_f64 v[32:33], v[132:133], s[16:17]
	v_fma_f64 v[42:43], v[94:95], s[22:23], v[34:35]
	v_mul_f64 v[46:47], v[128:129], s[14:15]
	v_fma_f64 v[34:35], v[94:95], s[30:31], v[34:35]
	v_add_f64 v[22:23], v[52:53], v[22:23]
	v_fma_f64 v[48:49], v[108:109], s[18:19], -v[70:71]
	v_add_f64 v[26:27], v[44:45], v[38:39]
	v_mul_f64 v[229:230], v[122:123], s[34:35]
	v_add_f64 v[144:145], v[144:145], v[231:232]
	v_mul_f64 v[235:236], v[122:123], s[18:19]
	v_add_f64 v[185:186], v[213:214], -v[150:151]
	v_add_f64 v[154:155], v[154:155], v[152:153]
	v_mul_f64 v[215:216], v[132:133], s[10:11]
	v_mul_f64 v[189:190], v[128:129], s[44:45]
	v_fma_f64 v[160:161], v[94:95], s[38:39], v[251:252]
	v_add_f64 v[164:165], v[164:165], v[203:204]
	v_fma_f64 v[195:196], v[108:109], s[16:17], -v[239:240]
	v_add_f64 v[148:149], v[219:220], v[187:188]
	v_add_f64 v[217:218], v[245:246], v[217:218]
	v_fma_f64 v[245:246], v[108:109], s[16:17], v[239:240]
	v_fma_f64 v[36:37], v[108:109], s[18:19], v[70:71]
	v_add_f64 v[20:21], v[40:41], v[20:21]
	v_add_f64 v[14:15], v[14:15], v[18:19]
	;; [unrolled: 1-line block ×3, first 2 shown]
	v_fma_f64 v[38:39], v[120:121], s[14:15], v[32:33]
	v_add_f64 v[22:23], v[34:35], v[22:23]
	v_fma_f64 v[34:35], v[122:123], s[16:17], -v[46:47]
	v_add_f64 v[24:25], v[48:49], v[26:27]
	v_add_f64 v[12:13], v[144:145], v[28:29]
	v_add_f64 v[28:29], v[229:230], -v[134:135]
	v_add_f64 v[156:157], v[235:236], -v[156:157]
	v_add_f64 v[154:155], v[185:186], v[154:155]
	v_fma_f64 v[162:163], v[120:121], s[44:45], v[215:216]
	v_add_f64 v[160:161], v[160:161], v[164:165]
	v_fma_f64 v[164:165], v[122:123], s[10:11], -v[189:190]
	v_add_f64 v[187:188], v[195:196], v[148:149]
	v_fma_f64 v[225:226], v[120:121], s[2:3], v[215:216]
	v_fma_f64 v[197:198], v[122:123], s[10:11], v[189:190]
	v_add_f64 v[217:218], v[245:246], v[217:218]
	v_fma_f64 v[26:27], v[120:121], s[38:39], v[32:33]
	v_add_f64 v[32:33], v[42:43], v[86:87]
	;; [unrolled: 2-line block ×3, first 2 shown]
	v_add_f64 v[20:21], v[14:15], v[10:11]
	v_add_f64 v[18:19], v[18:19], v[8:9]
	;; [unrolled: 1-line block ×8, first 2 shown]
	s_movk_i32 s2, 0xc0
	v_mad_u32_u24 v8, v64, s2, v170
	v_add_f64 v[148:149], v[225:226], v[237:238]
	v_add_f64 v[146:147], v[197:198], v[217:218]
	;; [unrolled: 1-line block ×4, first 2 shown]
	ds_write_b128 v8, v[18:21]
	ds_write_b128 v8, v[14:17] offset:16
	ds_write_b128 v8, v[10:13] offset:32
	;; [unrolled: 1-line block ×12, first 2 shown]
.LBB0_13:
	s_or_b64 exec, exec, s[24:25]
	s_movk_i32 s2, 0x4f
	v_mul_lo_u16_sdwa v8, v64, s2 dst_sel:DWORD dst_unused:UNUSED_PAD src0_sel:BYTE_0 src1_sel:DWORD
	v_lshrrev_b16_e32 v63, 10, v8
	v_mul_lo_u16_e32 v8, 13, v63
	v_sub_u16_e32 v65, v64, v8
	v_mov_b32_e32 v8, 6
	v_lshlrev_b32_sdwa v24, v8, v65 dst_sel:DWORD dst_unused:UNUSED_PAD src0_sel:DWORD src1_sel:BYTE_0
	s_waitcnt lgkmcnt(0)
	s_barrier
	global_load_dwordx4 v[8:11], v24, s[8:9] offset:16
	global_load_dwordx4 v[12:15], v24, s[8:9]
	global_load_dwordx4 v[16:19], v24, s[8:9] offset:48
	global_load_dwordx4 v[20:23], v24, s[8:9] offset:32
	v_add_u32_e32 v50, 0xc3, v64
	s_movk_i32 s2, 0x4ec5
	v_mul_u32_u24_sdwa v24, v50, s2 dst_sel:DWORD dst_unused:UNUSED_PAD src0_sel:WORD_0 src1_sel:DWORD
	v_lshrrev_b32_e32 v102, 18, v24
	v_mul_lo_u16_e32 v24, 13, v102
	v_sub_u16_e32 v103, v50, v24
	v_lshlrev_b32_e32 v40, 6, v103
	global_load_dwordx4 v[24:27], v40, s[8:9]
	global_load_dwordx4 v[28:31], v40, s[8:9] offset:16
	global_load_dwordx4 v[32:35], v40, s[8:9] offset:32
	;; [unrolled: 1-line block ×3, first 2 shown]
	ds_read_b128 v[40:43], v170
	ds_read_b128 v[44:47], v170 offset:3120
	ds_read_b128 v[51:54], v170 offset:6240
	;; [unrolled: 1-line block ×9, first 2 shown]
	s_mov_b32 s2, 0x134454ff
	s_mov_b32 s3, 0x3fee6f0e
	;; [unrolled: 1-line block ×10, first 2 shown]
	s_waitcnt vmcnt(0) lgkmcnt(0)
	s_barrier
	s_movk_i32 s16, 0xfd
	v_mul_f64 v[88:89], v[61:62], v[10:11]
	v_mul_f64 v[48:49], v[53:54], v[14:15]
	;; [unrolled: 1-line block ×16, first 2 shown]
	v_fma_f64 v[48:49], v[51:52], v[12:13], -v[48:49]
	v_fma_f64 v[12:13], v[53:54], v[12:13], v[14:15]
	v_fma_f64 v[14:15], v[59:60], v[8:9], -v[88:89]
	v_fma_f64 v[8:9], v[61:62], v[8:9], v[10:11]
	;; [unrolled: 2-line block ×8, first 2 shown]
	v_add_f64 v[18:19], v[40:41], v[48:49]
	v_add_f64 v[24:25], v[14:15], v[10:11]
	v_add_f64 v[33:34], v[48:49], -v[14:15]
	v_add_f64 v[37:38], v[22:23], -v[10:11]
	v_add_f64 v[68:69], v[48:49], v[22:23]
	v_add_f64 v[26:27], v[12:13], -v[16:17]
	v_add_f64 v[28:29], v[8:9], -v[20:21]
	;; [unrolled: 1-line block ×4, first 2 shown]
	v_add_f64 v[74:75], v[42:43], v[12:13]
	v_add_f64 v[76:77], v[8:9], v[20:21]
	v_add_f64 v[78:79], v[14:15], -v[10:11]
	v_add_f64 v[80:81], v[12:13], -v[8:9]
	v_add_f64 v[84:85], v[12:13], v[16:17]
	v_add_f64 v[86:87], v[8:9], -v[12:13]
	v_add_f64 v[12:13], v[44:45], v[51:52]
	v_add_f64 v[14:15], v[18:19], v[14:15]
	v_fma_f64 v[18:19], v[24:25], -0.5, v[40:41]
	v_add_f64 v[24:25], v[33:34], v[37:38]
	v_fma_f64 v[33:34], v[68:69], -0.5, v[40:41]
	v_add_f64 v[82:83], v[16:17], -v[20:21]
	v_add_f64 v[90:91], v[55:56], v[59:60]
	v_add_f64 v[37:38], v[70:71], v[72:73]
	;; [unrolled: 1-line block ×3, first 2 shown]
	v_fma_f64 v[39:40], v[76:77], -0.5, v[42:43]
	v_fma_f64 v[41:42], v[84:85], -0.5, v[42:43]
	v_add_f64 v[70:71], v[12:13], v[55:56]
	v_add_f64 v[10:11], v[14:15], v[10:11]
	v_fma_f64 v[12:13], v[26:27], s[2:3], v[18:19]
	v_fma_f64 v[14:15], v[26:27], s[10:11], v[18:19]
	;; [unrolled: 1-line block ×4, first 2 shown]
	v_add_f64 v[48:49], v[48:49], -v[22:23]
	v_add_f64 v[88:89], v[20:21], -v[16:17]
	v_add_f64 v[92:93], v[53:54], -v[35:36]
	v_add_f64 v[68:69], v[80:81], v[82:83]
	v_fma_f64 v[72:73], v[90:91], -0.5, v[44:45]
	v_add_f64 v[20:21], v[8:9], v[20:21]
	v_fma_f64 v[76:77], v[78:79], s[2:3], v[41:42]
	v_fma_f64 v[41:42], v[78:79], s[10:11], v[41:42]
	;; [unrolled: 1-line block ×6, first 2 shown]
	v_add_f64 v[94:95], v[57:58], -v[31:32]
	v_add_f64 v[96:97], v[51:52], -v[55:56]
	;; [unrolled: 1-line block ×3, first 2 shown]
	v_fma_f64 v[74:75], v[48:49], s[10:11], v[39:40]
	v_fma_f64 v[39:40], v[48:49], s[2:3], v[39:40]
	;; [unrolled: 1-line block ×3, first 2 shown]
	v_add_f64 v[8:9], v[10:11], v[22:23]
	v_add_f64 v[10:11], v[20:21], v[16:17]
	v_fma_f64 v[13:14], v[24:25], s[6:7], v[12:13]
	v_fma_f64 v[17:18], v[24:25], s[6:7], v[28:29]
	;; [unrolled: 1-line block ×4, first 2 shown]
	v_add_f64 v[23:24], v[51:52], v[61:62]
	v_fma_f64 v[27:28], v[48:49], s[14:15], v[76:77]
	v_add_f64 v[29:30], v[86:87], v[88:89]
	v_fma_f64 v[33:34], v[48:49], s[4:5], v[41:42]
	v_add_f64 v[37:38], v[70:71], v[59:60]
	v_fma_f64 v[15:16], v[78:79], s[14:15], v[74:75]
	v_fma_f64 v[19:20], v[78:79], s[4:5], v[39:40]
	v_fma_f64 v[39:40], v[94:95], s[4:5], v[80:81]
	v_add_f64 v[41:42], v[96:97], v[98:99]
	v_fma_f64 v[43:44], v[23:24], -0.5, v[44:45]
	v_fma_f64 v[23:24], v[29:30], s[6:7], v[27:28]
	v_fma_f64 v[27:28], v[29:30], s[6:7], v[33:34]
	v_add_f64 v[29:30], v[37:38], v[61:62]
	v_add_f64 v[37:38], v[57:58], v[31:32]
	;; [unrolled: 1-line block ×4, first 2 shown]
	v_fma_f64 v[15:16], v[68:69], s[6:7], v[15:16]
	v_fma_f64 v[19:20], v[68:69], s[6:7], v[19:20]
	;; [unrolled: 1-line block ×4, first 2 shown]
	v_add_f64 v[68:69], v[55:56], -v[51:52]
	v_add_f64 v[72:73], v[59:60], -v[61:62]
	v_fma_f64 v[37:38], v[37:38], -0.5, v[46:47]
	v_add_f64 v[51:52], v[51:52], -v[61:62]
	v_add_f64 v[55:56], v[55:56], -v[59:60]
	v_fma_f64 v[45:46], v[70:71], -0.5, v[46:47]
	v_add_f64 v[61:62], v[74:75], v[57:58]
	v_add_f64 v[70:71], v[53:54], -v[57:58]
	v_fma_f64 v[48:49], v[94:95], s[10:11], v[43:44]
	v_add_f64 v[59:60], v[68:69], v[72:73]
	v_add_f64 v[72:73], v[35:36], -v[31:32]
	v_fma_f64 v[68:69], v[51:52], s[10:11], v[37:38]
	v_fma_f64 v[43:44], v[94:95], s[2:3], v[43:44]
	;; [unrolled: 1-line block ×3, first 2 shown]
	v_add_f64 v[53:54], v[57:58], -v[53:54]
	v_add_f64 v[57:58], v[31:32], -v[35:36]
	v_fma_f64 v[45:46], v[55:56], s[10:11], v[45:46]
	v_fma_f64 v[37:38], v[51:52], s[2:3], v[37:38]
	v_add_f64 v[31:32], v[61:62], v[31:32]
	v_fma_f64 v[61:62], v[55:56], s[14:15], v[68:69]
	v_add_f64 v[68:69], v[70:71], v[72:73]
	v_fma_f64 v[39:40], v[94:95], s[14:15], v[39:40]
	v_fma_f64 v[48:49], v[92:93], s[4:5], v[48:49]
	;; [unrolled: 1-line block ×4, first 2 shown]
	v_add_f64 v[53:54], v[53:54], v[57:58]
	v_fma_f64 v[51:52], v[51:52], s[4:5], v[45:46]
	v_fma_f64 v[55:56], v[55:56], s[4:5], v[37:38]
	v_add_f64 v[31:32], v[31:32], v[35:36]
	v_fma_f64 v[35:36], v[68:69], s[6:7], v[61:62]
	v_fma_f64 v[37:38], v[41:42], s[6:7], v[39:40]
	;; [unrolled: 1-line block ×6, first 2 shown]
	v_mov_b32_e32 v12, 4
	v_fma_f64 v[39:40], v[68:69], s[6:7], v[55:56]
	v_mul_u32_u24_e32 v49, 0x410, v63
	v_lshlrev_b32_sdwa v51, v12, v65 dst_sel:DWORD dst_unused:UNUSED_PAD src0_sel:DWORD src1_sel:BYTE_0
	v_add3_u32 v49, 0, v49, v51
	ds_write_b128 v49, v[8:11]
	ds_write_b128 v49, v[13:16] offset:208
	ds_write_b128 v49, v[21:24] offset:416
	;; [unrolled: 1-line block ×4, first 2 shown]
	v_mul_u32_u24_e32 v8, 0x410, v102
	v_lshlrev_b32_e32 v9, 4, v103
	v_add3_u32 v8, 0, v8, v9
	ds_write_b128 v8, v[29:32]
	ds_write_b128 v8, v[33:36] offset:208
	ds_write_b128 v8, v[41:44] offset:416
	;; [unrolled: 1-line block ×4, first 2 shown]
	v_mul_lo_u16_sdwa v8, v64, s16 dst_sel:DWORD dst_unused:UNUSED_PAD src0_sel:BYTE_0 src1_sel:DWORD
	v_lshrrev_b16_e32 v49, 14, v8
	v_mul_lo_u16_e32 v8, 0x41, v49
	v_sub_u16_e32 v63, v64, v8
	v_mov_b32_e32 v8, 9
	v_mul_u32_u24_sdwa v8, v63, v8 dst_sel:DWORD dst_unused:UNUSED_PAD src0_sel:BYTE_0 src1_sel:DWORD
	v_lshlrev_b32_e32 v45, 4, v8
	s_waitcnt lgkmcnt(0)
	s_barrier
	global_load_dwordx4 v[8:11], v45, s[8:9] offset:832
	global_load_dwordx4 v[13:16], v45, s[8:9] offset:880
	;; [unrolled: 1-line block ×9, first 2 shown]
	ds_read_b128 v[45:48], v170 offset:3120
	ds_read_b128 v[51:54], v170
	ds_read_b128 v[55:58], v170 offset:6240
	ds_read_b128 v[59:62], v170 offset:9360
	;; [unrolled: 1-line block ×8, first 2 shown]
	s_mov_b32 s16, 0x9b97f4a8
	s_mov_b32 s17, 0x3fe9e377
	v_mul_u32_u24_e32 v49, 0x28a0, v49
	v_lshlrev_b32_sdwa v12, v12, v63 dst_sel:DWORD dst_unused:UNUSED_PAD src0_sel:DWORD src1_sel:BYTE_0
	v_add3_u32 v12, 0, v49, v12
	s_waitcnt vmcnt(0) lgkmcnt(0)
	s_barrier
	v_mul_f64 v[92:93], v[47:48], v[10:11]
	v_mul_f64 v[94:95], v[70:71], v[15:16]
	;; [unrolled: 1-line block ×8, first 2 shown]
	v_fma_f64 v[92:93], v[45:46], v[8:9], -v[92:93]
	v_mul_f64 v[45:46], v[57:58], v[23:24]
	v_mul_f64 v[23:24], v[55:56], v[23:24]
	v_fma_f64 v[94:95], v[68:69], v[13:14], -v[94:95]
	v_fma_f64 v[68:69], v[76:77], v[17:18], -v[96:97]
	v_mul_f64 v[96:97], v[84:85], v[31:32]
	v_fma_f64 v[8:9], v[47:48], v[8:9], v[10:11]
	v_mul_f64 v[31:32], v[86:87], v[31:32]
	v_fma_f64 v[13:14], v[70:71], v[13:14], v[15:16]
	v_fma_f64 v[10:11], v[55:56], v[21:22], -v[45:46]
	v_mul_f64 v[45:46], v[74:75], v[35:36]
	v_mul_f64 v[35:36], v[72:73], v[35:36]
	v_fma_f64 v[21:22], v[57:58], v[21:22], v[23:24]
	v_fma_f64 v[23:24], v[59:60], v[25:26], -v[98:99]
	v_fma_f64 v[25:26], v[61:62], v[25:26], v[27:28]
	v_add_f64 v[15:16], v[94:95], v[68:69]
	v_fma_f64 v[27:28], v[86:87], v[29:30], v[96:97]
	v_mul_f64 v[47:48], v[82:83], v[39:40]
	v_add_f64 v[55:56], v[51:52], v[10:11]
	v_fma_f64 v[17:18], v[78:79], v[17:18], v[19:20]
	v_fma_f64 v[29:30], v[84:85], v[29:30], -v[31:32]
	v_fma_f64 v[31:32], v[74:75], v[33:34], v[35:36]
	v_mul_f64 v[35:36], v[80:81], v[39:40]
	v_fma_f64 v[15:16], v[15:16], -0.5, v[51:52]
	v_add_f64 v[57:58], v[21:22], -v[27:28]
	v_fma_f64 v[19:20], v[72:73], v[33:34], -v[45:46]
	v_fma_f64 v[33:34], v[80:81], v[37:38], -v[47:48]
	v_add_f64 v[39:40], v[55:56], v[94:95]
	v_add_f64 v[55:56], v[10:11], -v[94:95]
	v_add_f64 v[59:60], v[29:30], -v[68:69]
	v_mul_f64 v[61:62], v[90:91], v[43:44]
	v_add_f64 v[70:71], v[10:11], v[29:30]
	v_fma_f64 v[35:36], v[82:83], v[37:38], v[35:36]
	v_add_f64 v[37:38], v[13:14], v[17:18]
	v_fma_f64 v[45:46], v[57:58], s[2:3], v[15:16]
	v_add_f64 v[47:48], v[13:14], -v[17:18]
	v_mul_f64 v[43:44], v[88:89], v[43:44]
	v_add_f64 v[39:40], v[39:40], v[68:69]
	v_add_f64 v[55:56], v[55:56], v[59:60]
	v_fma_f64 v[59:60], v[88:89], v[41:42], -v[61:62]
	v_fma_f64 v[51:52], v[70:71], -0.5, v[51:52]
	v_fma_f64 v[37:38], v[37:38], -0.5, v[53:54]
	v_add_f64 v[61:62], v[10:11], -v[29:30]
	v_fma_f64 v[15:16], v[57:58], s[10:11], v[15:16]
	v_fma_f64 v[45:46], v[47:48], s[4:5], v[45:46]
	;; [unrolled: 1-line block ×3, first 2 shown]
	v_add_f64 v[39:40], v[39:40], v[29:30]
	v_add_f64 v[43:44], v[53:54], v[21:22]
	v_fma_f64 v[70:71], v[47:48], s[10:11], v[51:52]
	v_add_f64 v[10:11], v[94:95], -v[10:11]
	v_add_f64 v[29:30], v[68:69], -v[29:30]
	v_fma_f64 v[51:52], v[47:48], s[2:3], v[51:52]
	v_fma_f64 v[72:73], v[61:62], s[10:11], v[37:38]
	v_add_f64 v[68:69], v[94:95], -v[68:69]
	v_add_f64 v[74:75], v[21:22], -v[13:14]
	;; [unrolled: 1-line block ×3, first 2 shown]
	v_fma_f64 v[15:16], v[47:48], s[14:15], v[15:16]
	v_fma_f64 v[45:46], v[55:56], s[6:7], v[45:46]
	v_add_f64 v[43:44], v[43:44], v[13:14]
	v_fma_f64 v[47:48], v[57:58], s[4:5], v[70:71]
	v_add_f64 v[10:11], v[10:11], v[29:30]
	;; [unrolled: 2-line block ×5, first 2 shown]
	v_add_f64 v[43:44], v[43:44], v[17:18]
	v_fma_f64 v[47:48], v[10:11], s[6:7], v[47:48]
	v_fma_f64 v[37:38], v[61:62], s[2:3], v[37:38]
	v_fma_f64 v[51:52], v[51:52], -0.5, v[53:54]
	v_fma_f64 v[10:11], v[10:11], s[6:7], v[29:30]
	v_fma_f64 v[53:54], v[70:71], s[6:7], v[57:58]
	v_add_f64 v[29:30], v[92:93], v[23:24]
	v_fma_f64 v[15:16], v[15:16], -0.5, v[92:93]
	v_add_f64 v[57:58], v[25:26], -v[41:42]
	v_add_f64 v[43:44], v[43:44], v[27:28]
	v_fma_f64 v[37:38], v[68:69], s[4:5], v[37:38]
	v_fma_f64 v[72:73], v[68:69], s[2:3], v[51:52]
	v_add_f64 v[13:14], v[13:14], -v[21:22]
	v_add_f64 v[17:18], v[17:18], -v[27:28]
	v_fma_f64 v[21:22], v[68:69], s[10:11], v[51:52]
	v_add_f64 v[27:28], v[29:30], v[19:20]
	v_add_f64 v[29:30], v[23:24], v[59:60]
	v_fma_f64 v[51:52], v[57:58], s[2:3], v[15:16]
	v_add_f64 v[68:69], v[31:32], -v[35:36]
	v_add_f64 v[74:75], v[23:24], -v[19:20]
	;; [unrolled: 1-line block ×3, first 2 shown]
	v_fma_f64 v[72:73], v[61:62], s[14:15], v[72:73]
	v_add_f64 v[13:14], v[13:14], v[17:18]
	v_fma_f64 v[70:71], v[70:71], s[6:7], v[37:38]
	v_fma_f64 v[17:18], v[29:30], -0.5, v[92:93]
	v_fma_f64 v[21:22], v[61:62], s[4:5], v[21:22]
	v_add_f64 v[27:28], v[27:28], v[33:34]
	v_fma_f64 v[29:30], v[68:69], s[4:5], v[51:52]
	v_add_f64 v[37:38], v[74:75], v[76:77]
	v_add_f64 v[51:52], v[31:32], v[35:36]
	v_fma_f64 v[61:62], v[13:14], s[6:7], v[72:73]
	v_add_f64 v[78:79], v[19:20], -v[33:34]
	v_fma_f64 v[72:73], v[68:69], s[10:11], v[17:18]
	v_fma_f64 v[74:75], v[13:14], s[6:7], v[21:22]
	v_add_f64 v[76:77], v[27:28], v[59:60]
	v_add_f64 v[13:14], v[25:26], v[41:42]
	v_fma_f64 v[21:22], v[37:38], s[6:7], v[29:30]
	v_fma_f64 v[27:28], v[51:52], -0.5, v[8:9]
	v_add_f64 v[29:30], v[23:24], -v[59:60]
	v_fma_f64 v[15:16], v[57:58], s[10:11], v[15:16]
	v_fma_f64 v[51:52], v[57:58], s[4:5], v[72:73]
	v_add_f64 v[72:73], v[8:9], v[25:26]
	v_fma_f64 v[17:18], v[68:69], s[2:3], v[17:18]
	v_fma_f64 v[8:9], v[13:14], -0.5, v[8:9]
	v_add_f64 v[13:14], v[19:20], -v[23:24]
	v_add_f64 v[19:20], v[33:34], -v[59:60]
	v_fma_f64 v[23:24], v[29:30], s[10:11], v[27:28]
	v_add_f64 v[33:34], v[25:26], -v[31:32]
	v_add_f64 v[59:60], v[41:42], -v[35:36]
	v_fma_f64 v[27:28], v[29:30], s[2:3], v[27:28]
	v_fma_f64 v[15:16], v[68:69], s[14:15], v[15:16]
	v_add_f64 v[68:69], v[72:73], v[31:32]
	v_fma_f64 v[72:73], v[78:79], s[2:3], v[8:9]
	v_add_f64 v[25:26], v[31:32], -v[25:26]
	v_fma_f64 v[23:24], v[78:79], s[14:15], v[23:24]
	v_add_f64 v[31:32], v[35:36], -v[41:42]
	v_add_f64 v[33:34], v[33:34], v[59:60]
	v_fma_f64 v[8:9], v[78:79], s[10:11], v[8:9]
	v_add_f64 v[13:14], v[13:14], v[19:20]
	v_fma_f64 v[17:18], v[57:58], s[14:15], v[17:18]
	v_fma_f64 v[27:28], v[78:79], s[4:5], v[27:28]
	;; [unrolled: 1-line block ×4, first 2 shown]
	v_add_f64 v[25:26], v[25:26], v[31:32]
	v_fma_f64 v[23:24], v[33:34], s[6:7], v[23:24]
	v_fma_f64 v[8:9], v[29:30], s[4:5], v[8:9]
	v_add_f64 v[31:32], v[68:69], v[35:36]
	v_fma_f64 v[35:36], v[13:14], s[6:7], v[17:18]
	v_fma_f64 v[17:18], v[33:34], s[6:7], v[27:28]
	;; [unrolled: 1-line block ×3, first 2 shown]
	v_mul_f64 v[33:34], v[15:16], s[16:17]
	v_fma_f64 v[19:20], v[25:26], s[6:7], v[19:20]
	v_mul_f64 v[27:28], v[23:24], s[4:5]
	v_fma_f64 v[8:9], v[25:26], s[6:7], v[8:9]
	v_add_f64 v[51:52], v[31:32], v[41:42]
	v_mul_f64 v[31:32], v[35:36], s[6:7]
	v_mul_f64 v[57:58], v[17:18], s[16:17]
	v_add_f64 v[13:14], v[39:40], v[76:77]
	v_fma_f64 v[68:69], v[17:18], s[4:5], -v[33:34]
	v_mul_f64 v[25:26], v[19:20], s[2:3]
	v_fma_f64 v[37:38], v[21:22], s[16:17], v[27:28]
	v_mul_f64 v[21:22], v[21:22], s[14:15]
	v_mul_f64 v[27:28], v[29:30], s[10:11]
	;; [unrolled: 1-line block ×3, first 2 shown]
	v_fma_f64 v[8:9], v[8:9], s[2:3], -v[31:32]
	v_fma_f64 v[57:58], v[15:16], s[14:15], -v[57:58]
	v_add_f64 v[15:16], v[43:44], v[51:52]
	v_fma_f64 v[59:60], v[29:30], s[6:7], v[25:26]
	v_add_f64 v[17:18], v[45:46], v[37:38]
	v_fma_f64 v[72:73], v[23:24], s[16:17], v[21:22]
	v_fma_f64 v[78:79], v[19:20], s[6:7], v[27:28]
	v_fma_f64 v[80:81], v[35:36], s[10:11], -v[41:42]
	v_add_f64 v[25:26], v[10:11], v[8:9]
	v_add_f64 v[29:30], v[55:56], v[68:69]
	;; [unrolled: 1-line block ×4, first 2 shown]
	v_add_f64 v[33:34], v[39:40], -v[76:77]
	v_add_f64 v[19:20], v[53:54], v[72:73]
	v_add_f64 v[23:24], v[61:62], v[78:79]
	;; [unrolled: 1-line block ×3, first 2 shown]
	v_add_f64 v[35:36], v[43:44], -v[51:52]
	v_add_f64 v[37:38], v[45:46], -v[37:38]
	;; [unrolled: 1-line block ×9, first 2 shown]
	ds_write_b128 v12, v[13:16]
	ds_write_b128 v12, v[17:20] offset:1040
	ds_write_b128 v12, v[21:24] offset:2080
	;; [unrolled: 1-line block ×9, first 2 shown]
	s_waitcnt lgkmcnt(0)
	s_barrier
	ds_read_b128 v[16:19], v170
	ds_read_b128 v[12:15], v170 offset:3120
	ds_read_b128 v[32:35], v170 offset:20800
	ds_read_b128 v[24:27], v170 offset:23920
	ds_read_b128 v[44:47], v170 offset:10400
	ds_read_b128 v[20:23], v170 offset:6240
	ds_read_b128 v[40:43], v170 offset:13520
	ds_read_b128 v[36:39], v170 offset:16640
	ds_read_b128 v[28:31], v170 offset:27040
	s_movk_i32 s2, 0x41
	v_cmp_gt_u32_e32 vcc, s2, v64
	s_and_saveexec_b64 s[2:3], vcc
	s_cbranch_execz .LBB0_15
; %bb.14:
	ds_read_b128 v[8:11], v170 offset:9360
	ds_read_b128 v[0:3], v170 offset:19760
	;; [unrolled: 1-line block ×3, first 2 shown]
.LBB0_15:
	s_or_b64 exec, exec, s[2:3]
	v_lshlrev_b32_e32 v48, 1, v64
	v_mov_b32_e32 v49, 0
	v_lshlrev_b64 v[51:52], 4, v[48:49]
	v_mov_b32_e32 v63, s9
	v_add_co_u32_e64 v51, s[2:3], s8, v51
	v_addc_co_u32_e64 v52, s[2:3], v63, v52, s[2:3]
	s_movk_i32 s4, 0x27d0
	v_add_co_u32_e64 v59, s[2:3], s4, v51
	v_addc_co_u32_e64 v60, s[2:3], 0, v52, s[2:3]
	s_movk_i32 s10, 0x2000
	v_add_co_u32_e64 v61, s[2:3], s10, v51
	v_addc_co_u32_e64 v62, s[2:3], 0, v52, s[2:3]
	global_load_dwordx4 v[51:54], v[61:62], off offset:2000
	global_load_dwordx4 v[55:58], v[59:60], off offset:16
	v_lshlrev_b32_e32 v59, 1, v50
	v_mov_b32_e32 v60, v49
	v_lshlrev_b64 v[59:60], 4, v[59:60]
	v_add_u32_e32 v48, 0x30c, v48
	v_add_co_u32_e64 v50, s[2:3], s8, v59
	v_addc_co_u32_e64 v59, s[2:3], v63, v60, s[2:3]
	v_add_co_u32_e64 v72, s[2:3], s4, v50
	v_addc_co_u32_e64 v73, s[2:3], 0, v59, s[2:3]
	;; [unrolled: 2-line block ×3, first 2 shown]
	global_load_dwordx4 v[59:62], v[74:75], off offset:2000
	global_load_dwordx4 v[68:71], v[72:73], off offset:16
	v_lshlrev_b64 v[72:73], 4, v[48:49]
	s_mov_b32 s5, 0xbfebb67a
	v_add_co_u32_e64 v48, s[2:3], s8, v72
	v_addc_co_u32_e64 v50, s[2:3], v63, v73, s[2:3]
	v_add_co_u32_e64 v72, s[2:3], s10, v48
	v_addc_co_u32_e64 v73, s[2:3], 0, v50, s[2:3]
	;; [unrolled: 2-line block ×3, first 2 shown]
	global_load_dwordx4 v[72:75], v[72:73], off offset:2000
	s_mov_b32 s2, 0xe8584caa
	global_load_dwordx4 v[76:79], v[76:77], off offset:16
	s_mov_b32 s3, 0x3febb67a
	s_mov_b32 s4, s2
	s_waitcnt vmcnt(0) lgkmcnt(0)
	s_barrier
	v_mul_f64 v[80:81], v[46:47], v[53:54]
	v_mul_f64 v[53:54], v[44:45], v[53:54]
	;; [unrolled: 1-line block ×4, first 2 shown]
	v_fma_f64 v[44:45], v[44:45], v[51:52], -v[80:81]
	v_fma_f64 v[46:47], v[46:47], v[51:52], v[53:54]
	v_fma_f64 v[32:33], v[32:33], v[55:56], -v[82:83]
	v_fma_f64 v[34:35], v[34:35], v[55:56], v[57:58]
	v_mul_f64 v[84:85], v[42:43], v[61:62]
	v_mul_f64 v[61:62], v[40:41], v[61:62]
	;; [unrolled: 1-line block ×4, first 2 shown]
	v_add_f64 v[56:57], v[18:19], v[46:47]
	v_fma_f64 v[40:41], v[40:41], v[59:60], -v[84:85]
	v_fma_f64 v[42:43], v[42:43], v[59:60], v[61:62]
	v_fma_f64 v[50:51], v[24:25], v[68:69], -v[86:87]
	v_fma_f64 v[52:53], v[26:27], v[68:69], v[70:71]
	v_mul_f64 v[88:89], v[38:39], v[74:75]
	v_mul_f64 v[74:75], v[36:37], v[74:75]
	;; [unrolled: 1-line block ×4, first 2 shown]
	v_add_f64 v[60:61], v[40:41], v[50:51]
	v_add_f64 v[62:63], v[42:43], -v[52:53]
	v_add_f64 v[68:69], v[14:15], v[42:43]
	v_add_f64 v[42:43], v[42:43], v[52:53]
	v_fma_f64 v[24:25], v[36:37], v[72:73], -v[88:89]
	v_fma_f64 v[26:27], v[38:39], v[72:73], v[74:75]
	v_fma_f64 v[28:29], v[28:29], v[76:77], -v[90:91]
	v_fma_f64 v[54:55], v[30:31], v[76:77], v[78:79]
	v_add_f64 v[30:31], v[16:17], v[44:45]
	v_add_f64 v[36:37], v[44:45], v[32:33]
	v_add_f64 v[38:39], v[46:47], -v[34:35]
	v_add_f64 v[46:47], v[46:47], v[34:35]
	v_add_f64 v[44:45], v[44:45], -v[32:33]
	v_add_f64 v[70:71], v[20:21], v[24:25]
	v_add_f64 v[72:73], v[24:25], v[28:29]
	;; [unrolled: 1-line block ×3, first 2 shown]
	v_add_f64 v[80:81], v[24:25], -v[28:29]
	v_add_f64 v[24:25], v[30:31], v[32:33]
	v_fma_f64 v[30:31], v[36:37], -0.5, v[16:17]
	v_fma_f64 v[32:33], v[46:47], -0.5, v[18:19]
	v_add_f64 v[58:59], v[12:13], v[40:41]
	v_add_f64 v[40:41], v[40:41], -v[50:51]
	v_add_f64 v[74:75], v[26:27], -v[54:55]
	v_add_f64 v[76:77], v[22:23], v[26:27]
	v_add_f64 v[26:27], v[56:57], v[34:35]
	v_fma_f64 v[34:35], v[60:61], -0.5, v[12:13]
	v_fma_f64 v[14:15], v[42:43], -0.5, v[14:15]
	;; [unrolled: 1-line block ×4, first 2 shown]
	v_fma_f64 v[20:21], v[38:39], s[2:3], v[30:31]
	v_fma_f64 v[22:23], v[44:45], s[4:5], v[32:33]
	v_add_f64 v[12:13], v[70:71], v[28:29]
	v_fma_f64 v[28:29], v[38:39], s[4:5], v[30:31]
	v_fma_f64 v[30:31], v[44:45], s[2:3], v[32:33]
	v_add_f64 v[16:17], v[58:59], v[50:51]
	v_add_f64 v[18:19], v[68:69], v[52:53]
	v_fma_f64 v[32:33], v[62:63], s[2:3], v[34:35]
	v_fma_f64 v[36:37], v[62:63], s[4:5], v[34:35]
	;; [unrolled: 1-line block ×4, first 2 shown]
	v_add_f64 v[14:15], v[76:77], v[54:55]
	v_fma_f64 v[40:41], v[74:75], s[2:3], v[42:43]
	v_fma_f64 v[44:45], v[74:75], s[4:5], v[42:43]
	;; [unrolled: 1-line block ×4, first 2 shown]
	ds_write_b128 v170, v[24:27]
	ds_write_b128 v170, v[20:23] offset:10400
	ds_write_b128 v170, v[28:31] offset:20800
	;; [unrolled: 1-line block ×8, first 2 shown]
	s_and_saveexec_b64 s[6:7], vcc
	s_cbranch_execz .LBB0_17
; %bb.16:
	v_not_b32_e32 v12, 64
	v_mov_b32_e32 v13, 0x249
	v_cndmask_b32_e32 v12, v12, v13, vcc
	v_add_lshl_u32 v48, v64, v12, 1
	v_lshlrev_b64 v[12:13], 4, v[48:49]
	v_mov_b32_e32 v14, s9
	v_add_co_u32_e32 v12, vcc, s8, v12
	v_addc_co_u32_e32 v13, vcc, v14, v13, vcc
	v_add_co_u32_e32 v20, vcc, 0x27d0, v12
	v_addc_co_u32_e32 v21, vcc, 0, v13, vcc
	;; [unrolled: 2-line block ×3, first 2 shown]
	global_load_dwordx4 v[12:15], v[22:23], off offset:2000
	global_load_dwordx4 v[16:19], v[20:21], off offset:16
	s_waitcnt vmcnt(1)
	v_mul_f64 v[20:21], v[0:1], v[14:15]
	s_waitcnt vmcnt(0)
	v_mul_f64 v[22:23], v[4:5], v[18:19]
	v_mul_f64 v[14:15], v[2:3], v[14:15]
	;; [unrolled: 1-line block ×3, first 2 shown]
	v_fma_f64 v[2:3], v[2:3], v[12:13], v[20:21]
	v_fma_f64 v[6:7], v[6:7], v[16:17], v[22:23]
	v_fma_f64 v[0:1], v[0:1], v[12:13], -v[14:15]
	v_fma_f64 v[4:5], v[4:5], v[16:17], -v[18:19]
	v_add_f64 v[18:19], v[10:11], v[2:3]
	v_add_f64 v[12:13], v[2:3], v[6:7]
	;; [unrolled: 1-line block ×3, first 2 shown]
	v_add_f64 v[16:17], v[0:1], -v[4:5]
	v_add_f64 v[0:1], v[8:9], v[0:1]
	v_fma_f64 v[10:11], v[12:13], -0.5, v[10:11]
	v_add_f64 v[12:13], v[2:3], -v[6:7]
	v_fma_f64 v[14:15], v[14:15], -0.5, v[8:9]
	v_add_f64 v[2:3], v[18:19], v[6:7]
	v_add_f64 v[0:1], v[0:1], v[4:5]
	v_fma_f64 v[6:7], v[16:17], s[2:3], v[10:11]
	v_fma_f64 v[10:11], v[16:17], s[4:5], v[10:11]
	;; [unrolled: 1-line block ×4, first 2 shown]
	ds_write_b128 v170, v[0:3] offset:9360
	ds_write_b128 v170, v[8:11] offset:19760
	;; [unrolled: 1-line block ×3, first 2 shown]
.LBB0_17:
	s_or_b64 exec, exec, s[6:7]
	s_waitcnt lgkmcnt(0)
	s_barrier
	ds_read_b128 v[4:7], v170
	s_add_u32 s4, s8, 0x7910
	v_lshlrev_b32_e32 v0, 4, v64
	s_addc_u32 s5, s9, 0
	v_sub_u32_e32 v14, 0, v0
	v_cmp_ne_u32_e32 vcc, 0, v64
                                        ; implicit-def: $vgpr0_vgpr1
                                        ; implicit-def: $vgpr8_vgpr9
                                        ; implicit-def: $vgpr10_vgpr11
                                        ; implicit-def: $vgpr12_vgpr13
	s_and_saveexec_b64 s[2:3], vcc
	s_xor_b64 s[2:3], exec, s[2:3]
	s_cbranch_execz .LBB0_19
; %bb.18:
	v_mov_b32_e32 v65, 0
	v_lshlrev_b64 v[0:1], 4, v[64:65]
	v_mov_b32_e32 v2, s5
	v_add_co_u32_e32 v0, vcc, s4, v0
	v_addc_co_u32_e32 v1, vcc, v2, v1, vcc
	global_load_dwordx4 v[15:18], v[0:1], off
	ds_read_b128 v[0:3], v14 offset:31200
	s_waitcnt lgkmcnt(0)
	v_add_f64 v[8:9], v[4:5], -v[0:1]
	v_add_f64 v[10:11], v[6:7], v[2:3]
	v_add_f64 v[2:3], v[6:7], -v[2:3]
	v_add_f64 v[0:1], v[4:5], v[0:1]
	v_mul_f64 v[6:7], v[8:9], 0.5
	v_mul_f64 v[4:5], v[10:11], 0.5
	;; [unrolled: 1-line block ×3, first 2 shown]
	s_waitcnt vmcnt(0)
	v_mul_f64 v[8:9], v[6:7], v[17:18]
	v_fma_f64 v[10:11], v[4:5], v[17:18], v[2:3]
	v_fma_f64 v[2:3], v[4:5], v[17:18], -v[2:3]
	v_fma_f64 v[12:13], v[0:1], 0.5, v[8:9]
	v_fma_f64 v[0:1], v[0:1], 0.5, -v[8:9]
	v_fma_f64 v[10:11], -v[15:16], v[6:7], v[10:11]
	v_fma_f64 v[2:3], -v[15:16], v[6:7], v[2:3]
	v_fma_f64 v[8:9], v[4:5], v[15:16], v[12:13]
	v_mov_b32_e32 v12, v64
	v_fma_f64 v[0:1], -v[4:5], v[15:16], v[0:1]
	v_mov_b32_e32 v13, v65
                                        ; implicit-def: $vgpr4_vgpr5
.LBB0_19:
	s_andn2_saveexec_b64 s[2:3], s[2:3]
	s_cbranch_execz .LBB0_21
; %bb.20:
	s_waitcnt lgkmcnt(0)
	v_add_f64 v[8:9], v[4:5], v[6:7]
	v_add_f64 v[0:1], v[4:5], -v[6:7]
	v_mov_b32_e32 v4, 0
	ds_read_b64 v[2:3], v4 offset:15608
	v_mov_b32_e32 v10, 0
	v_mov_b32_e32 v12, 0
	;; [unrolled: 1-line block ×4, first 2 shown]
	s_waitcnt lgkmcnt(0)
	v_xor_b32_e32 v3, 0x80000000, v3
	ds_write_b64 v4, v[2:3] offset:15608
	v_mov_b32_e32 v2, v10
	v_mov_b32_e32 v3, v11
.LBB0_21:
	s_or_b64 exec, exec, s[2:3]
	s_waitcnt lgkmcnt(0)
	v_lshlrev_b64 v[4:5], 4, v[12:13]
	v_mov_b32_e32 v6, s5
	v_add_co_u32_e32 v23, vcc, s4, v4
	v_addc_co_u32_e32 v24, vcc, v6, v5, vcc
	global_load_dwordx4 v[15:18], v[23:24], off offset:3120
	s_movk_i32 s2, 0x1000
	v_add_co_u32_e32 v6, vcc, s2, v23
	v_addc_co_u32_e32 v7, vcc, 0, v24, vcc
	global_load_dwordx4 v[19:22], v[6:7], off offset:2144
	ds_write2_b64 v170, v[8:9], v[10:11] offset1:1
	ds_write_b128 v14, v[0:3] offset:31200
	ds_read_b128 v[0:3], v170 offset:3120
	ds_read_b128 v[6:9], v14 offset:28080
	s_movk_i32 s3, 0x2000
	s_movk_i32 s4, 0x3000
	s_waitcnt lgkmcnt(0)
	v_add_f64 v[10:11], v[0:1], -v[6:7]
	v_add_f64 v[12:13], v[2:3], v[8:9]
	v_add_f64 v[2:3], v[2:3], -v[8:9]
	v_add_f64 v[0:1], v[0:1], v[6:7]
	v_mul_f64 v[8:9], v[10:11], 0.5
	v_mul_f64 v[10:11], v[12:13], 0.5
	;; [unrolled: 1-line block ×3, first 2 shown]
	s_waitcnt vmcnt(1)
	v_mul_f64 v[6:7], v[8:9], v[17:18]
	v_fma_f64 v[12:13], v[10:11], v[17:18], v[2:3]
	v_fma_f64 v[17:18], v[10:11], v[17:18], -v[2:3]
	v_fma_f64 v[25:26], v[0:1], 0.5, v[6:7]
	v_fma_f64 v[6:7], v[0:1], 0.5, -v[6:7]
	v_add_co_u32_e32 v0, vcc, s3, v23
	v_addc_co_u32_e32 v1, vcc, 0, v24, vcc
	global_load_dwordx4 v[0:3], v[0:1], off offset:1168
	v_fma_f64 v[12:13], -v[15:16], v[8:9], v[12:13]
	v_fma_f64 v[8:9], -v[15:16], v[8:9], v[17:18]
	v_fma_f64 v[17:18], v[10:11], v[15:16], v[25:26]
	v_fma_f64 v[6:7], -v[10:11], v[15:16], v[6:7]
	v_add_u32_e32 v10, 0x800, v170
	ds_write2_b64 v10, v[17:18], v[12:13] offset0:134 offset1:135
	ds_write_b128 v14, v[6:9] offset:28080
	ds_read_b128 v[6:9], v170 offset:6240
	ds_read_b128 v[10:13], v14 offset:24960
	s_waitcnt lgkmcnt(0)
	v_add_f64 v[15:16], v[6:7], -v[10:11]
	v_add_f64 v[17:18], v[8:9], v[12:13]
	v_add_f64 v[8:9], v[8:9], -v[12:13]
	v_add_f64 v[6:7], v[6:7], v[10:11]
	v_mul_f64 v[12:13], v[15:16], 0.5
	v_mul_f64 v[15:16], v[17:18], 0.5
	;; [unrolled: 1-line block ×3, first 2 shown]
	s_waitcnt vmcnt(1)
	v_mul_f64 v[10:11], v[12:13], v[21:22]
	v_fma_f64 v[17:18], v[15:16], v[21:22], v[8:9]
	v_fma_f64 v[21:22], v[15:16], v[21:22], -v[8:9]
	v_fma_f64 v[25:26], v[6:7], 0.5, v[10:11]
	v_fma_f64 v[10:11], v[6:7], 0.5, -v[10:11]
	v_add_co_u32_e32 v6, vcc, s4, v23
	v_addc_co_u32_e32 v7, vcc, 0, v24, vcc
	global_load_dwordx4 v[6:9], v[6:7], off offset:192
	v_fma_f64 v[17:18], -v[19:20], v[12:13], v[17:18]
	v_fma_f64 v[12:13], -v[19:20], v[12:13], v[21:22]
	v_fma_f64 v[21:22], v[15:16], v[19:20], v[25:26]
	v_fma_f64 v[10:11], -v[15:16], v[19:20], v[10:11]
	v_add_u32_e32 v15, 0x1800, v170
	ds_write2_b64 v15, v[21:22], v[17:18] offset0:12 offset1:13
	ds_write_b128 v14, v[10:13] offset:24960
	ds_read_b128 v[10:13], v170 offset:9360
	ds_read_b128 v[15:18], v14 offset:21840
	s_waitcnt lgkmcnt(0)
	v_add_f64 v[19:20], v[10:11], -v[15:16]
	v_add_f64 v[21:22], v[12:13], v[17:18]
	v_add_f64 v[12:13], v[12:13], -v[17:18]
	v_add_f64 v[10:11], v[10:11], v[15:16]
	v_mul_f64 v[17:18], v[19:20], 0.5
	v_mul_f64 v[19:20], v[21:22], 0.5
	;; [unrolled: 1-line block ×3, first 2 shown]
	s_waitcnt vmcnt(1)
	v_mul_f64 v[15:16], v[17:18], v[2:3]
	v_fma_f64 v[21:22], v[19:20], v[2:3], v[12:13]
	v_fma_f64 v[2:3], v[19:20], v[2:3], -v[12:13]
	v_fma_f64 v[12:13], v[10:11], 0.5, v[15:16]
	v_fma_f64 v[10:11], v[10:11], 0.5, -v[15:16]
	v_fma_f64 v[15:16], -v[0:1], v[17:18], v[21:22]
	v_fma_f64 v[2:3], -v[0:1], v[17:18], v[2:3]
	v_fma_f64 v[12:13], v[19:20], v[0:1], v[12:13]
	v_fma_f64 v[0:1], -v[19:20], v[0:1], v[10:11]
	v_add_u32_e32 v10, 0x2000, v170
	ds_write2_b64 v10, v[12:13], v[15:16] offset0:146 offset1:147
	ds_write_b128 v14, v[0:3] offset:21840
	ds_read_b128 v[0:3], v170 offset:12480
	ds_read_b128 v[10:13], v14 offset:18720
	s_waitcnt lgkmcnt(0)
	v_add_f64 v[15:16], v[0:1], -v[10:11]
	v_add_f64 v[17:18], v[2:3], v[12:13]
	v_add_f64 v[2:3], v[2:3], -v[12:13]
	v_add_f64 v[0:1], v[0:1], v[10:11]
	v_mul_f64 v[12:13], v[15:16], 0.5
	v_mul_f64 v[15:16], v[17:18], 0.5
	;; [unrolled: 1-line block ×3, first 2 shown]
	s_waitcnt vmcnt(0)
	v_mul_f64 v[10:11], v[12:13], v[8:9]
	v_fma_f64 v[17:18], v[15:16], v[8:9], v[2:3]
	v_fma_f64 v[2:3], v[15:16], v[8:9], -v[2:3]
	v_fma_f64 v[8:9], v[0:1], 0.5, v[10:11]
	v_fma_f64 v[0:1], v[0:1], 0.5, -v[10:11]
	v_fma_f64 v[10:11], -v[6:7], v[12:13], v[17:18]
	v_fma_f64 v[2:3], -v[6:7], v[12:13], v[2:3]
	v_fma_f64 v[8:9], v[15:16], v[6:7], v[8:9]
	v_fma_f64 v[0:1], -v[15:16], v[6:7], v[0:1]
	v_add_u32_e32 v6, 0x3000, v170
	ds_write2_b64 v6, v[8:9], v[10:11] offset0:24 offset1:25
	ds_write_b128 v14, v[0:3] offset:18720
	s_waitcnt lgkmcnt(0)
	s_barrier
	s_and_saveexec_b64 s[6:7], s[0:1]
	s_cbranch_execz .LBB0_24
; %bb.22:
	ds_read_b128 v[6:9], v170
	ds_read_b128 v[10:13], v170 offset:3120
	v_mov_b32_e32 v0, s13
	v_add_co_u32_e32 v1, vcc, s12, v66
	v_addc_co_u32_e32 v0, vcc, v0, v67, vcc
	v_add_co_u32_e32 v14, vcc, v1, v4
	v_addc_co_u32_e32 v15, vcc, v0, v5, vcc
	s_waitcnt lgkmcnt(1)
	global_store_dwordx4 v[14:15], v[6:9], off
	s_waitcnt lgkmcnt(0)
	global_store_dwordx4 v[14:15], v[10:13], off offset:3120
	ds_read_b128 v[2:5], v170 offset:6240
	ds_read_b128 v[6:9], v170 offset:9360
	v_add_co_u32_e32 v10, vcc, s2, v14
	v_addc_co_u32_e32 v11, vcc, 0, v15, vcc
	s_waitcnt lgkmcnt(1)
	global_store_dwordx4 v[10:11], v[2:5], off offset:2144
	s_movk_i32 s0, 0x4000
	v_add_co_u32_e32 v2, vcc, s3, v14
	v_addc_co_u32_e32 v3, vcc, 0, v15, vcc
	s_waitcnt lgkmcnt(0)
	global_store_dwordx4 v[2:3], v[6:9], off offset:1168
	ds_read_b128 v[2:5], v170 offset:12480
	ds_read_b128 v[6:9], v170 offset:15600
	v_add_co_u32_e32 v10, vcc, s4, v14
	v_addc_co_u32_e32 v11, vcc, 0, v15, vcc
	s_waitcnt lgkmcnt(1)
	global_store_dwordx4 v[10:11], v[2:5], off offset:192
	s_waitcnt lgkmcnt(0)
	global_store_dwordx4 v[10:11], v[6:9], off offset:3312
	ds_read_b128 v[2:5], v170 offset:18720
	ds_read_b128 v[6:9], v170 offset:21840
	v_add_co_u32_e32 v10, vcc, s0, v14
	v_addc_co_u32_e32 v11, vcc, 0, v15, vcc
	s_waitcnt lgkmcnt(1)
	global_store_dwordx4 v[10:11], v[2:5], off offset:2336
	s_movk_i32 s0, 0xc2
	v_add_co_u32_e32 v2, vcc, 0x5000, v14
	v_addc_co_u32_e32 v3, vcc, 0, v15, vcc
	s_waitcnt lgkmcnt(0)
	global_store_dwordx4 v[2:3], v[6:9], off offset:1360
	ds_read_b128 v[2:5], v170 offset:24960
	ds_read_b128 v[6:9], v170 offset:28080
	v_add_co_u32_e32 v10, vcc, 0x6000, v14
	v_addc_co_u32_e32 v11, vcc, 0, v15, vcc
	v_cmp_eq_u32_e32 vcc, s0, v64
	s_waitcnt lgkmcnt(1)
	global_store_dwordx4 v[10:11], v[2:5], off offset:384
	s_waitcnt lgkmcnt(0)
	global_store_dwordx4 v[10:11], v[6:9], off offset:3504
	s_and_b64 exec, exec, vcc
	s_cbranch_execz .LBB0_24
; %bb.23:
	v_mov_b32_e32 v2, 0
	ds_read_b128 v[2:5], v2 offset:31200
	v_add_co_u32_e32 v6, vcc, 0x7000, v1
	v_addc_co_u32_e32 v7, vcc, 0, v0, vcc
	s_waitcnt lgkmcnt(0)
	global_store_dwordx4 v[6:7], v[2:5], off offset:2528
.LBB0_24:
	s_endpgm
	.section	.rodata,"a",@progbits
	.p2align	6, 0x0
	.amdhsa_kernel fft_rtc_fwd_len1950_factors_13_5_10_3_wgs_195_tpt_195_dp_ip_CI_unitstride_sbrr_R2C_dirReg
		.amdhsa_group_segment_fixed_size 0
		.amdhsa_private_segment_fixed_size 0
		.amdhsa_kernarg_size 88
		.amdhsa_user_sgpr_count 6
		.amdhsa_user_sgpr_private_segment_buffer 1
		.amdhsa_user_sgpr_dispatch_ptr 0
		.amdhsa_user_sgpr_queue_ptr 0
		.amdhsa_user_sgpr_kernarg_segment_ptr 1
		.amdhsa_user_sgpr_dispatch_id 0
		.amdhsa_user_sgpr_flat_scratch_init 0
		.amdhsa_user_sgpr_private_segment_size 0
		.amdhsa_uses_dynamic_stack 0
		.amdhsa_system_sgpr_private_segment_wavefront_offset 0
		.amdhsa_system_sgpr_workgroup_id_x 1
		.amdhsa_system_sgpr_workgroup_id_y 0
		.amdhsa_system_sgpr_workgroup_id_z 0
		.amdhsa_system_sgpr_workgroup_info 0
		.amdhsa_system_vgpr_workitem_id 0
		.amdhsa_next_free_vgpr 255
		.amdhsa_next_free_sgpr 46
		.amdhsa_reserve_vcc 1
		.amdhsa_reserve_flat_scratch 0
		.amdhsa_float_round_mode_32 0
		.amdhsa_float_round_mode_16_64 0
		.amdhsa_float_denorm_mode_32 3
		.amdhsa_float_denorm_mode_16_64 3
		.amdhsa_dx10_clamp 1
		.amdhsa_ieee_mode 1
		.amdhsa_fp16_overflow 0
		.amdhsa_exception_fp_ieee_invalid_op 0
		.amdhsa_exception_fp_denorm_src 0
		.amdhsa_exception_fp_ieee_div_zero 0
		.amdhsa_exception_fp_ieee_overflow 0
		.amdhsa_exception_fp_ieee_underflow 0
		.amdhsa_exception_fp_ieee_inexact 0
		.amdhsa_exception_int_div_zero 0
	.end_amdhsa_kernel
	.text
.Lfunc_end0:
	.size	fft_rtc_fwd_len1950_factors_13_5_10_3_wgs_195_tpt_195_dp_ip_CI_unitstride_sbrr_R2C_dirReg, .Lfunc_end0-fft_rtc_fwd_len1950_factors_13_5_10_3_wgs_195_tpt_195_dp_ip_CI_unitstride_sbrr_R2C_dirReg
                                        ; -- End function
	.section	.AMDGPU.csdata,"",@progbits
; Kernel info:
; codeLenInByte = 11632
; NumSgprs: 50
; NumVgprs: 255
; ScratchSize: 0
; MemoryBound: 0
; FloatMode: 240
; IeeeMode: 1
; LDSByteSize: 0 bytes/workgroup (compile time only)
; SGPRBlocks: 6
; VGPRBlocks: 63
; NumSGPRsForWavesPerEU: 50
; NumVGPRsForWavesPerEU: 255
; Occupancy: 1
; WaveLimiterHint : 1
; COMPUTE_PGM_RSRC2:SCRATCH_EN: 0
; COMPUTE_PGM_RSRC2:USER_SGPR: 6
; COMPUTE_PGM_RSRC2:TRAP_HANDLER: 0
; COMPUTE_PGM_RSRC2:TGID_X_EN: 1
; COMPUTE_PGM_RSRC2:TGID_Y_EN: 0
; COMPUTE_PGM_RSRC2:TGID_Z_EN: 0
; COMPUTE_PGM_RSRC2:TIDIG_COMP_CNT: 0
	.type	__hip_cuid_a96ff4838f4b0077,@object ; @__hip_cuid_a96ff4838f4b0077
	.section	.bss,"aw",@nobits
	.globl	__hip_cuid_a96ff4838f4b0077
__hip_cuid_a96ff4838f4b0077:
	.byte	0                               ; 0x0
	.size	__hip_cuid_a96ff4838f4b0077, 1

	.ident	"AMD clang version 19.0.0git (https://github.com/RadeonOpenCompute/llvm-project roc-6.4.0 25133 c7fe45cf4b819c5991fe208aaa96edf142730f1d)"
	.section	".note.GNU-stack","",@progbits
	.addrsig
	.addrsig_sym __hip_cuid_a96ff4838f4b0077
	.amdgpu_metadata
---
amdhsa.kernels:
  - .args:
      - .actual_access:  read_only
        .address_space:  global
        .offset:         0
        .size:           8
        .value_kind:     global_buffer
      - .offset:         8
        .size:           8
        .value_kind:     by_value
      - .actual_access:  read_only
        .address_space:  global
        .offset:         16
        .size:           8
        .value_kind:     global_buffer
      - .actual_access:  read_only
        .address_space:  global
        .offset:         24
        .size:           8
        .value_kind:     global_buffer
      - .offset:         32
        .size:           8
        .value_kind:     by_value
      - .actual_access:  read_only
        .address_space:  global
        .offset:         40
        .size:           8
        .value_kind:     global_buffer
      - .actual_access:  read_only
        .address_space:  global
        .offset:         48
        .size:           8
        .value_kind:     global_buffer
      - .offset:         56
        .size:           4
        .value_kind:     by_value
      - .actual_access:  read_only
        .address_space:  global
        .offset:         64
        .size:           8
        .value_kind:     global_buffer
      - .actual_access:  read_only
        .address_space:  global
        .offset:         72
        .size:           8
        .value_kind:     global_buffer
      - .address_space:  global
        .offset:         80
        .size:           8
        .value_kind:     global_buffer
    .group_segment_fixed_size: 0
    .kernarg_segment_align: 8
    .kernarg_segment_size: 88
    .language:       OpenCL C
    .language_version:
      - 2
      - 0
    .max_flat_workgroup_size: 195
    .name:           fft_rtc_fwd_len1950_factors_13_5_10_3_wgs_195_tpt_195_dp_ip_CI_unitstride_sbrr_R2C_dirReg
    .private_segment_fixed_size: 0
    .sgpr_count:     50
    .sgpr_spill_count: 0
    .symbol:         fft_rtc_fwd_len1950_factors_13_5_10_3_wgs_195_tpt_195_dp_ip_CI_unitstride_sbrr_R2C_dirReg.kd
    .uniform_work_group_size: 1
    .uses_dynamic_stack: false
    .vgpr_count:     255
    .vgpr_spill_count: 0
    .wavefront_size: 64
amdhsa.target:   amdgcn-amd-amdhsa--gfx906
amdhsa.version:
  - 1
  - 2
...

	.end_amdgpu_metadata
